;; amdgpu-corpus repo=ROCm/rocSPARSE kind=compiled arch=gfx1100 opt=O3
	.text
	.amdgcn_target "amdgcn-amd-amdhsa--gfx1100"
	.amdhsa_code_object_version 6
	.section	.text._ZN9rocsparseL49gtsv_nopivot_strided_batch_pcr_pow2_shared_kernelILj2EfEEviiiPKT0_S3_S3_PS1_,"axG",@progbits,_ZN9rocsparseL49gtsv_nopivot_strided_batch_pcr_pow2_shared_kernelILj2EfEEviiiPKT0_S3_S3_PS1_,comdat
	.globl	_ZN9rocsparseL49gtsv_nopivot_strided_batch_pcr_pow2_shared_kernelILj2EfEEviiiPKT0_S3_S3_PS1_ ; -- Begin function _ZN9rocsparseL49gtsv_nopivot_strided_batch_pcr_pow2_shared_kernelILj2EfEEviiiPKT0_S3_S3_PS1_
	.p2align	8
	.type	_ZN9rocsparseL49gtsv_nopivot_strided_batch_pcr_pow2_shared_kernelILj2EfEEviiiPKT0_S3_S3_PS1_,@function
_ZN9rocsparseL49gtsv_nopivot_strided_batch_pcr_pow2_shared_kernelILj2EfEEviiiPKT0_S3_S3_PS1_: ; @_ZN9rocsparseL49gtsv_nopivot_strided_batch_pcr_pow2_shared_kernelILj2EfEEviiiPKT0_S3_S3_PS1_
; %bb.0:
	s_clause 0x1
	s_load_b32 s8, s[0:1], 0x8
	s_load_b256 s[0:7], s[0:1], 0x10
	s_waitcnt lgkmcnt(0)
	v_mad_u64_u32 v[1:2], null, s15, s8, v[0:1]
	s_delay_alu instid0(VALU_DEP_1) | instskip(NEXT) | instid1(VALU_DEP_1)
	v_ashrrev_i32_e32 v2, 31, v1
	v_lshlrev_b64 v[1:2], 2, v[1:2]
	s_delay_alu instid0(VALU_DEP_1) | instskip(NEXT) | instid1(VALU_DEP_2)
	v_add_co_u32 v3, vcc_lo, s0, v1
	v_add_co_ci_u32_e32 v4, vcc_lo, s1, v2, vcc_lo
	v_add_co_u32 v5, vcc_lo, s2, v1
	v_add_co_ci_u32_e32 v6, vcc_lo, s3, v2, vcc_lo
	;; [unrolled: 2-line block ×4, first 2 shown]
	global_load_b32 v4, v[3:4], off
	global_load_b32 v5, v[5:6], off
	;; [unrolled: 1-line block ×4, first 2 shown]
	v_lshlrev_b32_e32 v3, 2, v0
	s_mov_b32 s0, exec_lo
	s_waitcnt vmcnt(2)
	ds_store_2addr_b32 v3, v4, v5 offset1:4
	s_waitcnt vmcnt(0)
	ds_store_2addr_b32 v3, v6, v7 offset0:8 offset1:16
	s_waitcnt vmcnt(0) lgkmcnt(0)
	s_waitcnt_vscnt null, 0x0
	; wave barrier
	s_waitcnt lgkmcnt(0)
	buffer_gl0_inv
	v_cmpx_eq_u32_e32 0, v0
	s_cbranch_execz .LBB0_2
; %bb.1:
	v_mov_b32_e32 v0, 0
	v_or_b32_e32 v6, 32, v3
	v_or_b32_e32 v7, 16, v3
	;; [unrolled: 1-line block ×3, first 2 shown]
	ds_load_2addr_b32 v[4:5], v0 offset0:1 offset1:5
	ds_load_b32 v6, v6
	ds_load_b32 v7, v7
	s_waitcnt lgkmcnt(1)
	v_mul_f32_e32 v10, v6, v4
	s_waitcnt lgkmcnt(0)
	s_delay_alu instid0(VALU_DEP_1) | instskip(NEXT) | instid1(VALU_DEP_1)
	v_fma_f32 v10, v5, v7, -v10
	v_div_scale_f32 v11, null, v10, v10, 1.0
	v_div_scale_f32 v14, vcc_lo, 1.0, v10, 1.0
	s_delay_alu instid0(VALU_DEP_2) | instskip(SKIP_2) | instid1(VALU_DEP_1)
	v_rcp_f32_e32 v12, v11
	s_waitcnt_depctr 0xfff
	v_fma_f32 v13, -v11, v12, 1.0
	v_fmac_f32_e32 v12, v13, v12
	s_delay_alu instid0(VALU_DEP_1) | instskip(SKIP_3) | instid1(VALU_DEP_1)
	v_mul_f32_e32 v13, v14, v12
	ds_load_b32 v8, v8
	ds_load_b32 v9, v0 offset:68
	v_fma_f32 v15, -v11, v13, v14
	v_fmac_f32_e32 v13, v15, v12
	s_waitcnt lgkmcnt(1)
	v_mul_f32_e32 v4, v4, v8
	s_waitcnt lgkmcnt(0)
	v_mul_f32_e32 v6, v6, v9
	v_fma_f32 v11, -v11, v13, v14
	s_delay_alu instid0(VALU_DEP_3) | instskip(NEXT) | instid1(VALU_DEP_3)
	v_fma_f32 v7, v7, v9, -v4
	v_fma_f32 v5, v5, v8, -v6
	s_delay_alu instid0(VALU_DEP_3) | instskip(NEXT) | instid1(VALU_DEP_1)
	v_div_fmas_f32 v11, v11, v12, v13
	v_div_fixup_f32 v6, v11, v10, 1.0
	s_delay_alu instid0(VALU_DEP_1)
	v_mul_f32_e32 v4, v6, v5
	v_mul_f32_e32 v5, v6, v7
	ds_store_b64 v0, v[4:5] offset:48
.LBB0_2:
	s_or_b32 exec_lo, exec_lo, s0
	s_waitcnt vmcnt(0) lgkmcnt(0)
	s_waitcnt_vscnt null, 0x0
	; wave barrier
	s_waitcnt lgkmcnt(0)
	buffer_gl0_inv
	ds_load_b32 v0, v3 offset:48
	s_waitcnt lgkmcnt(0)
	global_store_b32 v[1:2], v0, off
	s_nop 0
	s_sendmsg sendmsg(MSG_DEALLOC_VGPRS)
	s_endpgm
	.section	.rodata,"a",@progbits
	.p2align	6, 0x0
	.amdhsa_kernel _ZN9rocsparseL49gtsv_nopivot_strided_batch_pcr_pow2_shared_kernelILj2EfEEviiiPKT0_S3_S3_PS1_
		.amdhsa_group_segment_fixed_size 76
		.amdhsa_private_segment_fixed_size 0
		.amdhsa_kernarg_size 48
		.amdhsa_user_sgpr_count 15
		.amdhsa_user_sgpr_dispatch_ptr 0
		.amdhsa_user_sgpr_queue_ptr 0
		.amdhsa_user_sgpr_kernarg_segment_ptr 1
		.amdhsa_user_sgpr_dispatch_id 0
		.amdhsa_user_sgpr_private_segment_size 0
		.amdhsa_wavefront_size32 1
		.amdhsa_uses_dynamic_stack 0
		.amdhsa_enable_private_segment 0
		.amdhsa_system_sgpr_workgroup_id_x 1
		.amdhsa_system_sgpr_workgroup_id_y 0
		.amdhsa_system_sgpr_workgroup_id_z 0
		.amdhsa_system_sgpr_workgroup_info 0
		.amdhsa_system_vgpr_workitem_id 0
		.amdhsa_next_free_vgpr 16
		.amdhsa_next_free_sgpr 16
		.amdhsa_reserve_vcc 1
		.amdhsa_float_round_mode_32 0
		.amdhsa_float_round_mode_16_64 0
		.amdhsa_float_denorm_mode_32 3
		.amdhsa_float_denorm_mode_16_64 3
		.amdhsa_dx10_clamp 1
		.amdhsa_ieee_mode 1
		.amdhsa_fp16_overflow 0
		.amdhsa_workgroup_processor_mode 1
		.amdhsa_memory_ordered 1
		.amdhsa_forward_progress 0
		.amdhsa_shared_vgpr_count 0
		.amdhsa_exception_fp_ieee_invalid_op 0
		.amdhsa_exception_fp_denorm_src 0
		.amdhsa_exception_fp_ieee_div_zero 0
		.amdhsa_exception_fp_ieee_overflow 0
		.amdhsa_exception_fp_ieee_underflow 0
		.amdhsa_exception_fp_ieee_inexact 0
		.amdhsa_exception_int_div_zero 0
	.end_amdhsa_kernel
	.section	.text._ZN9rocsparseL49gtsv_nopivot_strided_batch_pcr_pow2_shared_kernelILj2EfEEviiiPKT0_S3_S3_PS1_,"axG",@progbits,_ZN9rocsparseL49gtsv_nopivot_strided_batch_pcr_pow2_shared_kernelILj2EfEEviiiPKT0_S3_S3_PS1_,comdat
.Lfunc_end0:
	.size	_ZN9rocsparseL49gtsv_nopivot_strided_batch_pcr_pow2_shared_kernelILj2EfEEviiiPKT0_S3_S3_PS1_, .Lfunc_end0-_ZN9rocsparseL49gtsv_nopivot_strided_batch_pcr_pow2_shared_kernelILj2EfEEviiiPKT0_S3_S3_PS1_
                                        ; -- End function
	.section	.AMDGPU.csdata,"",@progbits
; Kernel info:
; codeLenInByte = 472
; NumSgprs: 18
; NumVgprs: 16
; ScratchSize: 0
; MemoryBound: 0
; FloatMode: 240
; IeeeMode: 1
; LDSByteSize: 76 bytes/workgroup (compile time only)
; SGPRBlocks: 2
; VGPRBlocks: 1
; NumSGPRsForWavesPerEU: 18
; NumVGPRsForWavesPerEU: 16
; Occupancy: 16
; WaveLimiterHint : 0
; COMPUTE_PGM_RSRC2:SCRATCH_EN: 0
; COMPUTE_PGM_RSRC2:USER_SGPR: 15
; COMPUTE_PGM_RSRC2:TRAP_HANDLER: 0
; COMPUTE_PGM_RSRC2:TGID_X_EN: 1
; COMPUTE_PGM_RSRC2:TGID_Y_EN: 0
; COMPUTE_PGM_RSRC2:TGID_Z_EN: 0
; COMPUTE_PGM_RSRC2:TIDIG_COMP_CNT: 0
	.section	.text._ZN9rocsparseL49gtsv_nopivot_strided_batch_pcr_pow2_shared_kernelILj4EfEEviiiPKT0_S3_S3_PS1_,"axG",@progbits,_ZN9rocsparseL49gtsv_nopivot_strided_batch_pcr_pow2_shared_kernelILj4EfEEviiiPKT0_S3_S3_PS1_,comdat
	.globl	_ZN9rocsparseL49gtsv_nopivot_strided_batch_pcr_pow2_shared_kernelILj4EfEEviiiPKT0_S3_S3_PS1_ ; -- Begin function _ZN9rocsparseL49gtsv_nopivot_strided_batch_pcr_pow2_shared_kernelILj4EfEEviiiPKT0_S3_S3_PS1_
	.p2align	8
	.type	_ZN9rocsparseL49gtsv_nopivot_strided_batch_pcr_pow2_shared_kernelILj4EfEEviiiPKT0_S3_S3_PS1_,@function
_ZN9rocsparseL49gtsv_nopivot_strided_batch_pcr_pow2_shared_kernelILj4EfEEviiiPKT0_S3_S3_PS1_: ; @_ZN9rocsparseL49gtsv_nopivot_strided_batch_pcr_pow2_shared_kernelILj4EfEEviiiPKT0_S3_S3_PS1_
; %bb.0:
	s_clause 0x1
	s_load_b32 s8, s[0:1], 0x8
	s_load_b256 s[0:7], s[0:1], 0x10
	v_min_u32_e32 v9, 2, v0
	s_delay_alu instid0(VALU_DEP_1) | instskip(SKIP_2) | instid1(VALU_DEP_1)
	v_lshlrev_b32_e32 v13, 2, v9
	s_waitcnt lgkmcnt(0)
	v_mad_u64_u32 v[1:2], null, s15, s8, v[0:1]
	v_ashrrev_i32_e32 v2, 31, v1
	s_delay_alu instid0(VALU_DEP_1) | instskip(NEXT) | instid1(VALU_DEP_1)
	v_lshlrev_b64 v[1:2], 2, v[1:2]
	v_add_co_u32 v3, vcc_lo, s0, v1
	s_delay_alu instid0(VALU_DEP_2)
	v_add_co_ci_u32_e32 v4, vcc_lo, s1, v2, vcc_lo
	v_add_co_u32 v5, vcc_lo, s2, v1
	v_add_co_ci_u32_e32 v6, vcc_lo, s3, v2, vcc_lo
	v_add_co_u32 v7, vcc_lo, s4, v1
	;; [unrolled: 2-line block ×3, first 2 shown]
	v_add_co_ci_u32_e32 v2, vcc_lo, s7, v2, vcc_lo
	global_load_b32 v4, v[3:4], off
	global_load_b32 v5, v[5:6], off
	;; [unrolled: 1-line block ×4, first 2 shown]
	v_max_u32_e32 v8, 1, v0
	v_lshlrev_b32_e32 v3, 2, v0
	s_waitcnt vmcnt(2)
	ds_store_2addr_b32 v3, v4, v5 offset1:8
	s_waitcnt vmcnt(0)
	ds_store_2addr_b32 v3, v6, v7 offset0:16 offset1:32
	v_lshlrev_b32_e32 v12, 2, v8
	s_waitcnt vmcnt(0) lgkmcnt(0)
	s_waitcnt_vscnt null, 0x0
	; wave barrier
	s_waitcnt lgkmcnt(0)
	buffer_gl0_inv
	ds_load_2addr_b32 v[4:5], v3 offset1:8
	ds_load_2addr_b32 v[6:7], v12 offset0:7 offset1:15
	ds_load_2addr_b32 v[8:9], v3 offset0:16 offset1:32
	;; [unrolled: 1-line block ×3, first 2 shown]
	s_waitcnt lgkmcnt(2)
	v_div_scale_f32 v14, null, v6, v6, v4
	s_waitcnt lgkmcnt(0)
	v_div_scale_f32 v15, null, v11, v11, v8
	v_div_scale_f32 v20, vcc_lo, v4, v6, v4
	s_delay_alu instid0(VALU_DEP_3) | instskip(NEXT) | instid1(VALU_DEP_2)
	v_rcp_f32_e32 v16, v14
	v_rcp_f32_e32 v17, v15
	s_waitcnt_depctr 0xfff
	v_fma_f32 v18, -v14, v16, 1.0
	v_fma_f32 v19, -v15, v17, 1.0
	s_delay_alu instid0(VALU_DEP_1) | instskip(SKIP_2) | instid1(VALU_DEP_3)
	v_dual_fmac_f32 v16, v18, v16 :: v_dual_fmac_f32 v17, v19, v17
	v_div_scale_f32 v18, s0, v8, v11, v8
	v_add_nc_u32_e32 v24, -4, v12
	v_mul_f32_e32 v19, v20, v16
	s_delay_alu instid0(VALU_DEP_3) | instskip(NEXT) | instid1(VALU_DEP_2)
	v_mul_f32_e32 v21, v18, v17
	v_fma_f32 v22, -v14, v19, v20
	s_delay_alu instid0(VALU_DEP_2) | instskip(NEXT) | instid1(VALU_DEP_2)
	v_fma_f32 v23, -v15, v21, v18
	v_fmac_f32_e32 v19, v22, v16
	ds_load_b32 v22, v12 offset:124
	v_fmac_f32_e32 v21, v23, v17
	ds_load_b32 v23, v24
	ds_load_2addr_b32 v[12:13], v13 offset0:17 offset1:33
	s_waitcnt lgkmcnt(0)
	v_fma_f32 v14, -v14, v19, v20
	; wave barrier
	buffer_gl0_inv
	v_fma_f32 v15, -v15, v21, v18
	v_div_fmas_f32 v14, v14, v16, v19
	s_mov_b32 vcc_lo, s0
	s_mov_b32 s0, exec_lo
	s_delay_alu instid0(VALU_DEP_2) | instskip(NEXT) | instid1(VALU_DEP_2)
	v_div_fmas_f32 v15, v15, v17, v21
	v_div_fixup_f32 v4, v14, v6, v4
	s_delay_alu instid0(VALU_DEP_2) | instskip(NEXT) | instid1(VALU_DEP_2)
	v_div_fixup_f32 v6, v15, v11, v8
	v_fma_f32 v5, -v4, v7, v5
	v_fma_f32 v7, -v4, v22, v9
	v_mul_f32_e64 v4, v4, -v23
	s_delay_alu instid0(VALU_DEP_4) | instskip(NEXT) | instid1(VALU_DEP_4)
	v_mul_f32_e64 v8, v6, -v12
	v_fma_f32 v5, -v6, v10, v5
	s_delay_alu instid0(VALU_DEP_4)
	v_fma_f32 v6, -v6, v13, v7
	ds_store_2addr_b32 v3, v4, v5 offset1:8
	ds_store_2addr_b32 v3, v8, v6 offset0:16 offset1:32
	s_waitcnt vmcnt(0) lgkmcnt(0)
	s_waitcnt_vscnt null, 0x0
	; wave barrier
	s_waitcnt lgkmcnt(0)
	buffer_gl0_inv
	v_cmpx_gt_u32_e32 2, v0
	s_cbranch_execz .LBB1_2
; %bb.1:
	v_or_b32_e32 v0, 64, v3
	v_or_b32_e32 v4, 32, v3
	;; [unrolled: 1-line block ×3, first 2 shown]
	ds_load_b32 v0, v0
	ds_load_b32 v8, v3 offset:8
	ds_load_2addr_b32 v[4:5], v4 offset1:2
	s_waitcnt lgkmcnt(1)
	v_mul_f32_e32 v6, v0, v8
	s_waitcnt lgkmcnt(0)
	s_delay_alu instid0(VALU_DEP_1) | instskip(NEXT) | instid1(VALU_DEP_1)
	v_fma_f32 v9, v5, v4, -v6
	v_div_scale_f32 v10, null, v9, v9, 1.0
	v_div_scale_f32 v12, vcc_lo, 1.0, v9, 1.0
	s_delay_alu instid0(VALU_DEP_2) | instskip(SKIP_2) | instid1(VALU_DEP_1)
	v_rcp_f32_e32 v11, v10
	s_waitcnt_depctr 0xfff
	v_fma_f32 v6, -v10, v11, 1.0
	v_fmac_f32_e32 v11, v6, v11
	ds_load_2addr_b32 v[6:7], v7 offset1:2
	s_waitcnt lgkmcnt(0)
	v_mul_f32_e32 v8, v8, v6
	v_mul_f32_e32 v0, v0, v7
	s_delay_alu instid0(VALU_DEP_2) | instskip(NEXT) | instid1(VALU_DEP_2)
	v_fma_f32 v4, v4, v7, -v8
	v_fma_f32 v0, v5, v6, -v0
	v_mul_f32_e32 v13, v12, v11
	s_delay_alu instid0(VALU_DEP_1) | instskip(NEXT) | instid1(VALU_DEP_1)
	v_fma_f32 v14, -v10, v13, v12
	v_fmac_f32_e32 v13, v14, v11
	s_delay_alu instid0(VALU_DEP_1) | instskip(NEXT) | instid1(VALU_DEP_1)
	v_fma_f32 v10, -v10, v13, v12
	v_div_fmas_f32 v10, v10, v11, v13
	s_delay_alu instid0(VALU_DEP_1) | instskip(NEXT) | instid1(VALU_DEP_1)
	v_div_fixup_f32 v5, v10, v9, 1.0
	v_mul_f32_e32 v0, v5, v0
	v_mul_f32_e32 v4, v5, v4
	ds_store_2addr_b32 v3, v0, v4 offset0:24 offset1:26
.LBB1_2:
	s_or_b32 exec_lo, exec_lo, s0
	s_waitcnt vmcnt(0) lgkmcnt(0)
	s_waitcnt_vscnt null, 0x0
	; wave barrier
	s_waitcnt lgkmcnt(0)
	buffer_gl0_inv
	ds_load_b32 v0, v3 offset:96
	s_waitcnt lgkmcnt(0)
	global_store_b32 v[1:2], v0, off
	s_nop 0
	s_sendmsg sendmsg(MSG_DEALLOC_VGPRS)
	s_endpgm
	.section	.rodata,"a",@progbits
	.p2align	6, 0x0
	.amdhsa_kernel _ZN9rocsparseL49gtsv_nopivot_strided_batch_pcr_pow2_shared_kernelILj4EfEEviiiPKT0_S3_S3_PS1_
		.amdhsa_group_segment_fixed_size 148
		.amdhsa_private_segment_fixed_size 0
		.amdhsa_kernarg_size 48
		.amdhsa_user_sgpr_count 15
		.amdhsa_user_sgpr_dispatch_ptr 0
		.amdhsa_user_sgpr_queue_ptr 0
		.amdhsa_user_sgpr_kernarg_segment_ptr 1
		.amdhsa_user_sgpr_dispatch_id 0
		.amdhsa_user_sgpr_private_segment_size 0
		.amdhsa_wavefront_size32 1
		.amdhsa_uses_dynamic_stack 0
		.amdhsa_enable_private_segment 0
		.amdhsa_system_sgpr_workgroup_id_x 1
		.amdhsa_system_sgpr_workgroup_id_y 0
		.amdhsa_system_sgpr_workgroup_id_z 0
		.amdhsa_system_sgpr_workgroup_info 0
		.amdhsa_system_vgpr_workitem_id 0
		.amdhsa_next_free_vgpr 25
		.amdhsa_next_free_sgpr 16
		.amdhsa_reserve_vcc 1
		.amdhsa_float_round_mode_32 0
		.amdhsa_float_round_mode_16_64 0
		.amdhsa_float_denorm_mode_32 3
		.amdhsa_float_denorm_mode_16_64 3
		.amdhsa_dx10_clamp 1
		.amdhsa_ieee_mode 1
		.amdhsa_fp16_overflow 0
		.amdhsa_workgroup_processor_mode 1
		.amdhsa_memory_ordered 1
		.amdhsa_forward_progress 0
		.amdhsa_shared_vgpr_count 0
		.amdhsa_exception_fp_ieee_invalid_op 0
		.amdhsa_exception_fp_denorm_src 0
		.amdhsa_exception_fp_ieee_div_zero 0
		.amdhsa_exception_fp_ieee_overflow 0
		.amdhsa_exception_fp_ieee_underflow 0
		.amdhsa_exception_fp_ieee_inexact 0
		.amdhsa_exception_int_div_zero 0
	.end_amdhsa_kernel
	.section	.text._ZN9rocsparseL49gtsv_nopivot_strided_batch_pcr_pow2_shared_kernelILj4EfEEviiiPKT0_S3_S3_PS1_,"axG",@progbits,_ZN9rocsparseL49gtsv_nopivot_strided_batch_pcr_pow2_shared_kernelILj4EfEEviiiPKT0_S3_S3_PS1_,comdat
.Lfunc_end1:
	.size	_ZN9rocsparseL49gtsv_nopivot_strided_batch_pcr_pow2_shared_kernelILj4EfEEviiiPKT0_S3_S3_PS1_, .Lfunc_end1-_ZN9rocsparseL49gtsv_nopivot_strided_batch_pcr_pow2_shared_kernelILj4EfEEviiiPKT0_S3_S3_PS1_
                                        ; -- End function
	.section	.AMDGPU.csdata,"",@progbits
; Kernel info:
; codeLenInByte = 828
; NumSgprs: 18
; NumVgprs: 25
; ScratchSize: 0
; MemoryBound: 0
; FloatMode: 240
; IeeeMode: 1
; LDSByteSize: 148 bytes/workgroup (compile time only)
; SGPRBlocks: 2
; VGPRBlocks: 3
; NumSGPRsForWavesPerEU: 18
; NumVGPRsForWavesPerEU: 25
; Occupancy: 16
; WaveLimiterHint : 0
; COMPUTE_PGM_RSRC2:SCRATCH_EN: 0
; COMPUTE_PGM_RSRC2:USER_SGPR: 15
; COMPUTE_PGM_RSRC2:TRAP_HANDLER: 0
; COMPUTE_PGM_RSRC2:TGID_X_EN: 1
; COMPUTE_PGM_RSRC2:TGID_Y_EN: 0
; COMPUTE_PGM_RSRC2:TGID_Z_EN: 0
; COMPUTE_PGM_RSRC2:TIDIG_COMP_CNT: 0
	.section	.text._ZN9rocsparseL49gtsv_nopivot_strided_batch_pcr_pow2_shared_kernelILj8EfEEviiiPKT0_S3_S3_PS1_,"axG",@progbits,_ZN9rocsparseL49gtsv_nopivot_strided_batch_pcr_pow2_shared_kernelILj8EfEEviiiPKT0_S3_S3_PS1_,comdat
	.globl	_ZN9rocsparseL49gtsv_nopivot_strided_batch_pcr_pow2_shared_kernelILj8EfEEviiiPKT0_S3_S3_PS1_ ; -- Begin function _ZN9rocsparseL49gtsv_nopivot_strided_batch_pcr_pow2_shared_kernelILj8EfEEviiiPKT0_S3_S3_PS1_
	.p2align	8
	.type	_ZN9rocsparseL49gtsv_nopivot_strided_batch_pcr_pow2_shared_kernelILj8EfEEviiiPKT0_S3_S3_PS1_,@function
_ZN9rocsparseL49gtsv_nopivot_strided_batch_pcr_pow2_shared_kernelILj8EfEEviiiPKT0_S3_S3_PS1_: ; @_ZN9rocsparseL49gtsv_nopivot_strided_batch_pcr_pow2_shared_kernelILj8EfEEviiiPKT0_S3_S3_PS1_
; %bb.0:
	s_clause 0x1
	s_load_b32 s8, s[0:1], 0x8
	s_load_b256 s[0:7], s[0:1], 0x10
	v_min_u32_e32 v9, 6, v0
	s_delay_alu instid0(VALU_DEP_1) | instskip(SKIP_2) | instid1(VALU_DEP_1)
	v_lshlrev_b32_e32 v13, 2, v9
	s_waitcnt lgkmcnt(0)
	v_mad_u64_u32 v[1:2], null, s15, s8, v[0:1]
	v_ashrrev_i32_e32 v2, 31, v1
	s_delay_alu instid0(VALU_DEP_1) | instskip(NEXT) | instid1(VALU_DEP_1)
	v_lshlrev_b64 v[1:2], 2, v[1:2]
	v_add_co_u32 v3, vcc_lo, s0, v1
	s_delay_alu instid0(VALU_DEP_2)
	v_add_co_ci_u32_e32 v4, vcc_lo, s1, v2, vcc_lo
	v_add_co_u32 v5, vcc_lo, s2, v1
	v_add_co_ci_u32_e32 v6, vcc_lo, s3, v2, vcc_lo
	v_add_co_u32 v7, vcc_lo, s4, v1
	;; [unrolled: 2-line block ×3, first 2 shown]
	v_add_co_ci_u32_e32 v2, vcc_lo, s7, v2, vcc_lo
	global_load_b32 v4, v[3:4], off
	global_load_b32 v5, v[5:6], off
	;; [unrolled: 1-line block ×4, first 2 shown]
	v_max_u32_e32 v8, 1, v0
	v_lshlrev_b32_e32 v3, 2, v0
	s_waitcnt vmcnt(2)
	ds_store_2addr_b32 v3, v4, v5 offset1:12
	s_waitcnt vmcnt(0)
	ds_store_2addr_b32 v3, v6, v7 offset0:24 offset1:48
	v_lshlrev_b32_e32 v12, 2, v8
	s_waitcnt vmcnt(0) lgkmcnt(0)
	s_waitcnt_vscnt null, 0x0
	; wave barrier
	s_waitcnt lgkmcnt(0)
	buffer_gl0_inv
	ds_load_2addr_b32 v[4:5], v3 offset1:12
	ds_load_2addr_b32 v[6:7], v12 offset0:11 offset1:23
	ds_load_2addr_b32 v[8:9], v3 offset0:24 offset1:48
	;; [unrolled: 1-line block ×3, first 2 shown]
	s_waitcnt lgkmcnt(2)
	v_div_scale_f32 v14, null, v6, v6, v4
	s_waitcnt lgkmcnt(0)
	v_div_scale_f32 v15, null, v11, v11, v8
	v_div_scale_f32 v20, vcc_lo, v4, v6, v4
	s_delay_alu instid0(VALU_DEP_3) | instskip(NEXT) | instid1(VALU_DEP_2)
	v_rcp_f32_e32 v16, v14
	v_rcp_f32_e32 v17, v15
	s_waitcnt_depctr 0xfff
	v_fma_f32 v18, -v14, v16, 1.0
	v_fma_f32 v19, -v15, v17, 1.0
	s_delay_alu instid0(VALU_DEP_1) | instskip(SKIP_2) | instid1(VALU_DEP_3)
	v_dual_fmac_f32 v16, v18, v16 :: v_dual_fmac_f32 v17, v19, v17
	v_div_scale_f32 v18, s0, v8, v11, v8
	v_add_nc_u32_e32 v24, -4, v12
	v_mul_f32_e32 v19, v20, v16
	s_delay_alu instid0(VALU_DEP_3) | instskip(NEXT) | instid1(VALU_DEP_2)
	v_mul_f32_e32 v21, v18, v17
	v_fma_f32 v22, -v14, v19, v20
	s_delay_alu instid0(VALU_DEP_2) | instskip(NEXT) | instid1(VALU_DEP_2)
	v_fma_f32 v23, -v15, v21, v18
	v_fmac_f32_e32 v19, v22, v16
	ds_load_b32 v22, v12 offset:188
	v_fmac_f32_e32 v21, v23, v17
	ds_load_b32 v23, v24
	ds_load_2addr_b32 v[12:13], v13 offset0:25 offset1:49
	s_waitcnt lgkmcnt(0)
	v_fma_f32 v14, -v14, v19, v20
	; wave barrier
	buffer_gl0_inv
	v_fma_f32 v15, -v15, v21, v18
	v_div_fmas_f32 v14, v14, v16, v19
	s_mov_b32 vcc_lo, s0
	s_delay_alu instid0(VALU_DEP_2) | instskip(NEXT) | instid1(VALU_DEP_2)
	v_div_fmas_f32 v15, v15, v17, v21
	v_div_fixup_f32 v4, v14, v6, v4
	v_max_u32_e32 v6, 2, v0
	v_min_u32_e32 v14, 5, v0
	s_delay_alu instid0(VALU_DEP_4) | instskip(NEXT) | instid1(VALU_DEP_4)
	v_div_fixup_f32 v8, v15, v11, v8
	v_fma_f32 v5, -v4, v7, v5
	v_fma_f32 v7, -v4, v22, v9
	v_mul_f32_e64 v4, v4, -v23
	v_lshlrev_b32_e32 v15, 2, v6
	v_mul_f32_e64 v6, v8, -v12
	v_fma_f32 v5, -v8, v10, v5
	v_fma_f32 v7, -v8, v13, v7
	v_lshlrev_b32_e32 v12, 2, v14
	v_add_nc_u32_e32 v24, -8, v15
	ds_store_2addr_b32 v3, v4, v5 offset1:12
	ds_store_2addr_b32 v3, v6, v7 offset0:24 offset1:48
	s_waitcnt vmcnt(0) lgkmcnt(0)
	s_waitcnt_vscnt null, 0x0
	; wave barrier
	s_waitcnt lgkmcnt(0)
	buffer_gl0_inv
	ds_load_2addr_b32 v[4:5], v3 offset1:12
	ds_load_2addr_b32 v[6:7], v15 offset0:10 offset1:22
	ds_load_2addr_b32 v[8:9], v3 offset0:24 offset1:48
	ds_load_2addr_b32 v[10:11], v12 offset0:2 offset1:14
	ds_load_b32 v15, v15 offset:184
	s_waitcnt lgkmcnt(3)
	v_div_scale_f32 v14, null, v6, v6, v4
	s_waitcnt lgkmcnt(1)
	v_div_scale_f32 v16, null, v11, v11, v8
	v_div_scale_f32 v21, s0, v8, v11, v8
	s_delay_alu instid0(VALU_DEP_3) | instskip(NEXT) | instid1(VALU_DEP_2)
	v_rcp_f32_e32 v17, v14
	v_rcp_f32_e32 v18, v16
	v_div_scale_f32 v20, vcc_lo, v4, v6, v4
	s_waitcnt_depctr 0xfff
	v_fma_f32 v13, -v14, v17, 1.0
	v_fma_f32 v19, -v16, v18, 1.0
	s_delay_alu instid0(VALU_DEP_1) | instskip(NEXT) | instid1(VALU_DEP_1)
	v_fmac_f32_e32 v18, v19, v18
	v_mul_f32_e32 v22, v21, v18
	s_delay_alu instid0(VALU_DEP_1) | instskip(NEXT) | instid1(VALU_DEP_1)
	v_fma_f32 v23, -v16, v22, v21
	v_dual_fmac_f32 v17, v13, v17 :: v_dual_fmac_f32 v22, v23, v18
	s_delay_alu instid0(VALU_DEP_1) | instskip(NEXT) | instid1(VALU_DEP_2)
	v_mul_f32_e32 v19, v20, v17
	v_fma_f32 v16, -v16, v22, v21
	s_delay_alu instid0(VALU_DEP_2) | instskip(NEXT) | instid1(VALU_DEP_1)
	v_fma_f32 v13, -v14, v19, v20
	v_fmac_f32_e32 v19, v13, v17
	ds_load_b32 v23, v24
	ds_load_2addr_b32 v[12:13], v12 offset0:26 offset1:50
	s_waitcnt vmcnt(0) lgkmcnt(0)
	s_waitcnt_vscnt null, 0x0
	; wave barrier
	s_waitcnt lgkmcnt(0)
	buffer_gl0_inv
	v_fma_f32 v14, -v14, v19, v20
	s_delay_alu instid0(VALU_DEP_1) | instskip(SKIP_3) | instid1(VALU_DEP_2)
	v_div_fmas_f32 v14, v14, v17, v19
	s_mov_b32 vcc_lo, s0
	s_mov_b32 s0, exec_lo
	v_div_fmas_f32 v16, v16, v18, v22
	v_div_fixup_f32 v4, v14, v6, v4
	s_delay_alu instid0(VALU_DEP_2) | instskip(NEXT) | instid1(VALU_DEP_2)
	v_div_fixup_f32 v6, v16, v11, v8
	v_fma_f32 v5, -v4, v7, v5
	v_fma_f32 v7, -v4, v15, v9
	v_mul_f32_e64 v4, v4, -v23
	s_delay_alu instid0(VALU_DEP_4) | instskip(NEXT) | instid1(VALU_DEP_4)
	v_mul_f32_e64 v8, v6, -v12
	v_fma_f32 v5, -v6, v10, v5
	s_delay_alu instid0(VALU_DEP_4)
	v_fma_f32 v6, -v6, v13, v7
	ds_store_2addr_b32 v3, v4, v5 offset1:12
	ds_store_2addr_b32 v3, v8, v6 offset0:24 offset1:48
	s_waitcnt vmcnt(0) lgkmcnt(0)
	s_waitcnt_vscnt null, 0x0
	; wave barrier
	s_waitcnt lgkmcnt(0)
	buffer_gl0_inv
	v_cmpx_gt_u32_e32 4, v0
	s_cbranch_execz .LBB2_2
; %bb.1:
	v_or_b32_e32 v0, 0x60, v3
	v_add_nc_u32_e32 v4, 48, v3
	v_or_b32_e32 v7, 0xc0, v3
	ds_load_b32 v0, v0
	ds_load_b32 v8, v3 offset:16
	ds_load_2addr_b32 v[4:5], v4 offset1:4
	s_waitcnt lgkmcnt(1)
	v_mul_f32_e32 v6, v0, v8
	s_waitcnt lgkmcnt(0)
	s_delay_alu instid0(VALU_DEP_1) | instskip(NEXT) | instid1(VALU_DEP_1)
	v_fma_f32 v9, v5, v4, -v6
	v_div_scale_f32 v10, null, v9, v9, 1.0
	v_div_scale_f32 v12, vcc_lo, 1.0, v9, 1.0
	s_delay_alu instid0(VALU_DEP_2) | instskip(SKIP_2) | instid1(VALU_DEP_1)
	v_rcp_f32_e32 v11, v10
	s_waitcnt_depctr 0xfff
	v_fma_f32 v6, -v10, v11, 1.0
	v_fmac_f32_e32 v11, v6, v11
	ds_load_2addr_b32 v[6:7], v7 offset1:4
	s_waitcnt lgkmcnt(0)
	v_mul_f32_e32 v8, v8, v6
	v_mul_f32_e32 v0, v0, v7
	s_delay_alu instid0(VALU_DEP_2) | instskip(NEXT) | instid1(VALU_DEP_2)
	v_fma_f32 v4, v4, v7, -v8
	v_fma_f32 v0, v5, v6, -v0
	v_mul_f32_e32 v13, v12, v11
	s_delay_alu instid0(VALU_DEP_1) | instskip(NEXT) | instid1(VALU_DEP_1)
	v_fma_f32 v14, -v10, v13, v12
	v_fmac_f32_e32 v13, v14, v11
	s_delay_alu instid0(VALU_DEP_1) | instskip(NEXT) | instid1(VALU_DEP_1)
	v_fma_f32 v10, -v10, v13, v12
	v_div_fmas_f32 v10, v10, v11, v13
	s_delay_alu instid0(VALU_DEP_1) | instskip(NEXT) | instid1(VALU_DEP_1)
	v_div_fixup_f32 v5, v10, v9, 1.0
	v_mul_f32_e32 v0, v5, v0
	v_mul_f32_e32 v4, v5, v4
	ds_store_2addr_b32 v3, v0, v4 offset0:36 offset1:40
.LBB2_2:
	s_or_b32 exec_lo, exec_lo, s0
	s_waitcnt vmcnt(0) lgkmcnt(0)
	s_waitcnt_vscnt null, 0x0
	; wave barrier
	s_waitcnt lgkmcnt(0)
	buffer_gl0_inv
	ds_load_b32 v0, v3 offset:144
	s_waitcnt lgkmcnt(0)
	global_store_b32 v[1:2], v0, off
	s_nop 0
	s_sendmsg sendmsg(MSG_DEALLOC_VGPRS)
	s_endpgm
	.section	.rodata,"a",@progbits
	.p2align	6, 0x0
	.amdhsa_kernel _ZN9rocsparseL49gtsv_nopivot_strided_batch_pcr_pow2_shared_kernelILj8EfEEviiiPKT0_S3_S3_PS1_
		.amdhsa_group_segment_fixed_size 228
		.amdhsa_private_segment_fixed_size 0
		.amdhsa_kernarg_size 48
		.amdhsa_user_sgpr_count 15
		.amdhsa_user_sgpr_dispatch_ptr 0
		.amdhsa_user_sgpr_queue_ptr 0
		.amdhsa_user_sgpr_kernarg_segment_ptr 1
		.amdhsa_user_sgpr_dispatch_id 0
		.amdhsa_user_sgpr_private_segment_size 0
		.amdhsa_wavefront_size32 1
		.amdhsa_uses_dynamic_stack 0
		.amdhsa_enable_private_segment 0
		.amdhsa_system_sgpr_workgroup_id_x 1
		.amdhsa_system_sgpr_workgroup_id_y 0
		.amdhsa_system_sgpr_workgroup_id_z 0
		.amdhsa_system_sgpr_workgroup_info 0
		.amdhsa_system_vgpr_workitem_id 0
		.amdhsa_next_free_vgpr 25
		.amdhsa_next_free_sgpr 16
		.amdhsa_reserve_vcc 1
		.amdhsa_float_round_mode_32 0
		.amdhsa_float_round_mode_16_64 0
		.amdhsa_float_denorm_mode_32 3
		.amdhsa_float_denorm_mode_16_64 3
		.amdhsa_dx10_clamp 1
		.amdhsa_ieee_mode 1
		.amdhsa_fp16_overflow 0
		.amdhsa_workgroup_processor_mode 1
		.amdhsa_memory_ordered 1
		.amdhsa_forward_progress 0
		.amdhsa_shared_vgpr_count 0
		.amdhsa_exception_fp_ieee_invalid_op 0
		.amdhsa_exception_fp_denorm_src 0
		.amdhsa_exception_fp_ieee_div_zero 0
		.amdhsa_exception_fp_ieee_overflow 0
		.amdhsa_exception_fp_ieee_underflow 0
		.amdhsa_exception_fp_ieee_inexact 0
		.amdhsa_exception_int_div_zero 0
	.end_amdhsa_kernel
	.section	.text._ZN9rocsparseL49gtsv_nopivot_strided_batch_pcr_pow2_shared_kernelILj8EfEEviiiPKT0_S3_S3_PS1_,"axG",@progbits,_ZN9rocsparseL49gtsv_nopivot_strided_batch_pcr_pow2_shared_kernelILj8EfEEviiiPKT0_S3_S3_PS1_,comdat
.Lfunc_end2:
	.size	_ZN9rocsparseL49gtsv_nopivot_strided_batch_pcr_pow2_shared_kernelILj8EfEEviiiPKT0_S3_S3_PS1_, .Lfunc_end2-_ZN9rocsparseL49gtsv_nopivot_strided_batch_pcr_pow2_shared_kernelILj8EfEEviiiPKT0_S3_S3_PS1_
                                        ; -- End function
	.section	.AMDGPU.csdata,"",@progbits
; Kernel info:
; codeLenInByte = 1200
; NumSgprs: 18
; NumVgprs: 25
; ScratchSize: 0
; MemoryBound: 0
; FloatMode: 240
; IeeeMode: 1
; LDSByteSize: 228 bytes/workgroup (compile time only)
; SGPRBlocks: 2
; VGPRBlocks: 3
; NumSGPRsForWavesPerEU: 18
; NumVGPRsForWavesPerEU: 25
; Occupancy: 16
; WaveLimiterHint : 0
; COMPUTE_PGM_RSRC2:SCRATCH_EN: 0
; COMPUTE_PGM_RSRC2:USER_SGPR: 15
; COMPUTE_PGM_RSRC2:TRAP_HANDLER: 0
; COMPUTE_PGM_RSRC2:TGID_X_EN: 1
; COMPUTE_PGM_RSRC2:TGID_Y_EN: 0
; COMPUTE_PGM_RSRC2:TGID_Z_EN: 0
; COMPUTE_PGM_RSRC2:TIDIG_COMP_CNT: 0
	.section	.text._ZN9rocsparseL49gtsv_nopivot_strided_batch_pcr_pow2_shared_kernelILj16EfEEviiiPKT0_S3_S3_PS1_,"axG",@progbits,_ZN9rocsparseL49gtsv_nopivot_strided_batch_pcr_pow2_shared_kernelILj16EfEEviiiPKT0_S3_S3_PS1_,comdat
	.globl	_ZN9rocsparseL49gtsv_nopivot_strided_batch_pcr_pow2_shared_kernelILj16EfEEviiiPKT0_S3_S3_PS1_ ; -- Begin function _ZN9rocsparseL49gtsv_nopivot_strided_batch_pcr_pow2_shared_kernelILj16EfEEviiiPKT0_S3_S3_PS1_
	.p2align	8
	.type	_ZN9rocsparseL49gtsv_nopivot_strided_batch_pcr_pow2_shared_kernelILj16EfEEviiiPKT0_S3_S3_PS1_,@function
_ZN9rocsparseL49gtsv_nopivot_strided_batch_pcr_pow2_shared_kernelILj16EfEEviiiPKT0_S3_S3_PS1_: ; @_ZN9rocsparseL49gtsv_nopivot_strided_batch_pcr_pow2_shared_kernelILj16EfEEviiiPKT0_S3_S3_PS1_
; %bb.0:
	s_clause 0x1
	s_load_b32 s8, s[0:1], 0x8
	s_load_b256 s[0:7], s[0:1], 0x10
	v_min_u32_e32 v9, 14, v0
	s_delay_alu instid0(VALU_DEP_1) | instskip(SKIP_2) | instid1(VALU_DEP_1)
	v_lshlrev_b32_e32 v13, 2, v9
	s_waitcnt lgkmcnt(0)
	v_mad_u64_u32 v[1:2], null, s15, s8, v[0:1]
	v_ashrrev_i32_e32 v2, 31, v1
	s_delay_alu instid0(VALU_DEP_1) | instskip(NEXT) | instid1(VALU_DEP_1)
	v_lshlrev_b64 v[1:2], 2, v[1:2]
	v_add_co_u32 v3, vcc_lo, s0, v1
	s_delay_alu instid0(VALU_DEP_2)
	v_add_co_ci_u32_e32 v4, vcc_lo, s1, v2, vcc_lo
	v_add_co_u32 v5, vcc_lo, s2, v1
	v_add_co_ci_u32_e32 v6, vcc_lo, s3, v2, vcc_lo
	v_add_co_u32 v7, vcc_lo, s4, v1
	v_add_co_ci_u32_e32 v8, vcc_lo, s5, v2, vcc_lo
	v_add_co_u32 v1, vcc_lo, s6, v1
	v_add_co_ci_u32_e32 v2, vcc_lo, s7, v2, vcc_lo
	global_load_b32 v4, v[3:4], off
	global_load_b32 v5, v[5:6], off
	;; [unrolled: 1-line block ×4, first 2 shown]
	v_max_u32_e32 v8, 1, v0
	v_lshlrev_b32_e32 v3, 2, v0
	s_waitcnt vmcnt(2)
	ds_store_2addr_b32 v3, v4, v5 offset1:20
	s_waitcnt vmcnt(0)
	ds_store_2addr_b32 v3, v6, v7 offset0:40 offset1:80
	v_lshlrev_b32_e32 v12, 2, v8
	s_waitcnt vmcnt(0) lgkmcnt(0)
	s_waitcnt_vscnt null, 0x0
	; wave barrier
	s_waitcnt lgkmcnt(0)
	buffer_gl0_inv
	ds_load_2addr_b32 v[4:5], v3 offset1:20
	ds_load_2addr_b32 v[6:7], v12 offset0:19 offset1:39
	ds_load_2addr_b32 v[8:9], v3 offset0:40 offset1:80
	;; [unrolled: 1-line block ×3, first 2 shown]
	s_waitcnt lgkmcnt(2)
	v_div_scale_f32 v14, null, v6, v6, v4
	s_waitcnt lgkmcnt(0)
	v_div_scale_f32 v15, null, v11, v11, v8
	v_div_scale_f32 v20, vcc_lo, v4, v6, v4
	s_delay_alu instid0(VALU_DEP_3) | instskip(NEXT) | instid1(VALU_DEP_2)
	v_rcp_f32_e32 v16, v14
	v_rcp_f32_e32 v17, v15
	s_waitcnt_depctr 0xfff
	v_fma_f32 v18, -v14, v16, 1.0
	v_fma_f32 v19, -v15, v17, 1.0
	s_delay_alu instid0(VALU_DEP_1) | instskip(SKIP_2) | instid1(VALU_DEP_3)
	v_dual_fmac_f32 v16, v18, v16 :: v_dual_fmac_f32 v17, v19, v17
	v_div_scale_f32 v18, s0, v8, v11, v8
	v_add_nc_u32_e32 v24, -4, v12
	v_mul_f32_e32 v19, v20, v16
	s_delay_alu instid0(VALU_DEP_3) | instskip(NEXT) | instid1(VALU_DEP_2)
	v_mul_f32_e32 v21, v18, v17
	v_fma_f32 v22, -v14, v19, v20
	s_delay_alu instid0(VALU_DEP_2) | instskip(NEXT) | instid1(VALU_DEP_2)
	v_fma_f32 v23, -v15, v21, v18
	v_fmac_f32_e32 v19, v22, v16
	ds_load_b32 v22, v12 offset:316
	v_fmac_f32_e32 v21, v23, v17
	ds_load_b32 v23, v24
	ds_load_2addr_b32 v[12:13], v13 offset0:41 offset1:81
	s_waitcnt lgkmcnt(0)
	v_fma_f32 v14, -v14, v19, v20
	; wave barrier
	buffer_gl0_inv
	v_fma_f32 v15, -v15, v21, v18
	v_div_fmas_f32 v14, v14, v16, v19
	s_mov_b32 vcc_lo, s0
	s_delay_alu instid0(VALU_DEP_2) | instskip(NEXT) | instid1(VALU_DEP_2)
	v_div_fmas_f32 v15, v15, v17, v21
	v_div_fixup_f32 v4, v14, v6, v4
	v_max_u32_e32 v6, 2, v0
	v_min_u32_e32 v14, 13, v0
	s_delay_alu instid0(VALU_DEP_4) | instskip(NEXT) | instid1(VALU_DEP_4)
	v_div_fixup_f32 v8, v15, v11, v8
	v_fma_f32 v5, -v4, v7, v5
	v_fma_f32 v7, -v4, v22, v9
	v_mul_f32_e64 v4, v4, -v23
	v_lshlrev_b32_e32 v15, 2, v6
	v_mul_f32_e64 v6, v8, -v12
	v_fma_f32 v5, -v8, v10, v5
	v_fma_f32 v7, -v8, v13, v7
	v_lshlrev_b32_e32 v12, 2, v14
	v_add_nc_u32_e32 v24, -8, v15
	ds_store_2addr_b32 v3, v4, v5 offset1:20
	ds_store_2addr_b32 v3, v6, v7 offset0:40 offset1:80
	s_waitcnt vmcnt(0) lgkmcnt(0)
	s_waitcnt_vscnt null, 0x0
	; wave barrier
	s_waitcnt lgkmcnt(0)
	buffer_gl0_inv
	ds_load_2addr_b32 v[4:5], v3 offset1:20
	ds_load_2addr_b32 v[6:7], v15 offset0:18 offset1:38
	ds_load_2addr_b32 v[8:9], v3 offset0:40 offset1:80
	;; [unrolled: 1-line block ×3, first 2 shown]
	ds_load_b32 v15, v15 offset:312
	s_waitcnt lgkmcnt(3)
	v_div_scale_f32 v14, null, v6, v6, v4
	s_waitcnt lgkmcnt(1)
	v_div_scale_f32 v16, null, v11, v11, v8
	v_div_scale_f32 v21, s0, v8, v11, v8
	s_delay_alu instid0(VALU_DEP_3) | instskip(NEXT) | instid1(VALU_DEP_2)
	v_rcp_f32_e32 v17, v14
	v_rcp_f32_e32 v18, v16
	v_div_scale_f32 v20, vcc_lo, v4, v6, v4
	s_waitcnt_depctr 0xfff
	v_fma_f32 v13, -v14, v17, 1.0
	v_fma_f32 v19, -v16, v18, 1.0
	s_delay_alu instid0(VALU_DEP_1) | instskip(NEXT) | instid1(VALU_DEP_1)
	v_fmac_f32_e32 v18, v19, v18
	v_mul_f32_e32 v22, v21, v18
	s_delay_alu instid0(VALU_DEP_1) | instskip(NEXT) | instid1(VALU_DEP_1)
	v_fma_f32 v23, -v16, v22, v21
	v_dual_fmac_f32 v17, v13, v17 :: v_dual_fmac_f32 v22, v23, v18
	s_delay_alu instid0(VALU_DEP_1) | instskip(NEXT) | instid1(VALU_DEP_2)
	v_mul_f32_e32 v19, v20, v17
	v_fma_f32 v16, -v16, v22, v21
	s_delay_alu instid0(VALU_DEP_2) | instskip(NEXT) | instid1(VALU_DEP_1)
	v_fma_f32 v13, -v14, v19, v20
	v_fmac_f32_e32 v19, v13, v17
	ds_load_b32 v23, v24
	ds_load_2addr_b32 v[12:13], v12 offset0:42 offset1:82
	s_waitcnt vmcnt(0) lgkmcnt(0)
	s_waitcnt_vscnt null, 0x0
	; wave barrier
	s_waitcnt lgkmcnt(0)
	buffer_gl0_inv
	v_fma_f32 v14, -v14, v19, v20
	s_delay_alu instid0(VALU_DEP_1) | instskip(SKIP_2) | instid1(VALU_DEP_2)
	v_div_fmas_f32 v14, v14, v17, v19
	s_mov_b32 vcc_lo, s0
	v_div_fmas_f32 v16, v16, v18, v22
	v_div_fixup_f32 v4, v14, v6, v4
	v_max_u32_e32 v6, 4, v0
	v_min_u32_e32 v14, 11, v0
	s_delay_alu instid0(VALU_DEP_4) | instskip(NEXT) | instid1(VALU_DEP_4)
	v_div_fixup_f32 v8, v16, v11, v8
	v_fma_f32 v5, -v4, v7, v5
	v_fma_f32 v7, -v4, v15, v9
	v_mul_f32_e64 v4, v4, -v23
	v_lshlrev_b32_e32 v15, 2, v6
	v_mul_f32_e64 v6, v8, -v12
	v_fma_f32 v5, -v8, v10, v5
	v_fma_f32 v7, -v8, v13, v7
	v_lshlrev_b32_e32 v12, 2, v14
	v_add_nc_u32_e32 v24, -16, v15
	ds_store_2addr_b32 v3, v4, v5 offset1:20
	ds_store_2addr_b32 v3, v6, v7 offset0:40 offset1:80
	s_waitcnt vmcnt(0) lgkmcnt(0)
	s_waitcnt_vscnt null, 0x0
	; wave barrier
	s_waitcnt lgkmcnt(0)
	buffer_gl0_inv
	ds_load_2addr_b32 v[4:5], v3 offset1:20
	ds_load_2addr_b32 v[6:7], v15 offset0:16 offset1:36
	ds_load_2addr_b32 v[8:9], v3 offset0:40 offset1:80
	;; [unrolled: 1-line block ×3, first 2 shown]
	ds_load_b32 v15, v15 offset:304
	s_waitcnt lgkmcnt(3)
	v_div_scale_f32 v14, null, v6, v6, v4
	s_waitcnt lgkmcnt(1)
	v_div_scale_f32 v16, null, v11, v11, v8
	v_div_scale_f32 v20, vcc_lo, v4, v6, v4
	s_delay_alu instid0(VALU_DEP_3) | instskip(NEXT) | instid1(VALU_DEP_2)
	v_rcp_f32_e32 v17, v14
	v_rcp_f32_e32 v18, v16
	v_div_scale_f32 v21, s0, v8, v11, v8
	s_waitcnt_depctr 0xfff
	v_fma_f32 v13, -v14, v17, 1.0
	v_fma_f32 v19, -v16, v18, 1.0
	s_delay_alu instid0(VALU_DEP_1) | instskip(NEXT) | instid1(VALU_DEP_1)
	v_dual_fmac_f32 v17, v13, v17 :: v_dual_fmac_f32 v18, v19, v18
	v_dual_mul_f32 v19, v20, v17 :: v_dual_mul_f32 v22, v21, v18
	s_delay_alu instid0(VALU_DEP_1) | instskip(NEXT) | instid1(VALU_DEP_2)
	v_fma_f32 v13, -v14, v19, v20
	v_fma_f32 v23, -v16, v22, v21
	s_delay_alu instid0(VALU_DEP_1)
	v_dual_fmac_f32 v19, v13, v17 :: v_dual_fmac_f32 v22, v23, v18
	ds_load_b32 v23, v24
	ds_load_2addr_b32 v[12:13], v12 offset0:44 offset1:84
	s_waitcnt vmcnt(0) lgkmcnt(0)
	s_waitcnt_vscnt null, 0x0
	; wave barrier
	s_waitcnt lgkmcnt(0)
	buffer_gl0_inv
	v_fma_f32 v14, -v14, v19, v20
	v_fma_f32 v16, -v16, v22, v21
	s_delay_alu instid0(VALU_DEP_2) | instskip(SKIP_2) | instid1(VALU_DEP_2)
	v_div_fmas_f32 v14, v14, v17, v19
	s_mov_b32 vcc_lo, s0
	s_mov_b32 s0, exec_lo
	v_div_fmas_f32 v16, v16, v18, v22
	s_delay_alu instid0(VALU_DEP_2) | instskip(NEXT) | instid1(VALU_DEP_2)
	v_div_fixup_f32 v4, v14, v6, v4
	v_div_fixup_f32 v6, v16, v11, v8
	s_delay_alu instid0(VALU_DEP_2) | instskip(SKIP_2) | instid1(VALU_DEP_4)
	v_fma_f32 v5, -v4, v7, v5
	v_fma_f32 v7, -v4, v15, v9
	v_mul_f32_e64 v4, v4, -v23
	v_mul_f32_e64 v8, v6, -v12
	s_delay_alu instid0(VALU_DEP_4) | instskip(NEXT) | instid1(VALU_DEP_4)
	v_fma_f32 v5, -v6, v10, v5
	v_fma_f32 v6, -v6, v13, v7
	ds_store_2addr_b32 v3, v4, v5 offset1:20
	ds_store_2addr_b32 v3, v8, v6 offset0:40 offset1:80
	s_waitcnt vmcnt(0) lgkmcnt(0)
	s_waitcnt_vscnt null, 0x0
	; wave barrier
	s_waitcnt lgkmcnt(0)
	buffer_gl0_inv
	v_cmpx_gt_u32_e32 8, v0
	s_cbranch_execz .LBB3_2
; %bb.1:
	v_add_nc_u32_e32 v0, 0xa0, v3
	v_add_nc_u32_e32 v4, 0x50, v3
	v_or_b32_e32 v7, 0x140, v3
	ds_load_b32 v0, v0
	ds_load_b32 v8, v3 offset:32
	ds_load_2addr_b32 v[4:5], v4 offset1:8
	s_waitcnt lgkmcnt(1)
	v_mul_f32_e32 v6, v0, v8
	s_waitcnt lgkmcnt(0)
	s_delay_alu instid0(VALU_DEP_1) | instskip(NEXT) | instid1(VALU_DEP_1)
	v_fma_f32 v9, v5, v4, -v6
	v_div_scale_f32 v10, null, v9, v9, 1.0
	v_div_scale_f32 v12, vcc_lo, 1.0, v9, 1.0
	s_delay_alu instid0(VALU_DEP_2) | instskip(SKIP_2) | instid1(VALU_DEP_1)
	v_rcp_f32_e32 v11, v10
	s_waitcnt_depctr 0xfff
	v_fma_f32 v6, -v10, v11, 1.0
	v_fmac_f32_e32 v11, v6, v11
	ds_load_2addr_b32 v[6:7], v7 offset1:8
	s_waitcnt lgkmcnt(0)
	v_mul_f32_e32 v8, v8, v6
	v_mul_f32_e32 v0, v0, v7
	s_delay_alu instid0(VALU_DEP_2) | instskip(NEXT) | instid1(VALU_DEP_2)
	v_fma_f32 v4, v4, v7, -v8
	v_fma_f32 v0, v5, v6, -v0
	v_mul_f32_e32 v13, v12, v11
	s_delay_alu instid0(VALU_DEP_1) | instskip(NEXT) | instid1(VALU_DEP_1)
	v_fma_f32 v14, -v10, v13, v12
	v_fmac_f32_e32 v13, v14, v11
	s_delay_alu instid0(VALU_DEP_1) | instskip(NEXT) | instid1(VALU_DEP_1)
	v_fma_f32 v10, -v10, v13, v12
	v_div_fmas_f32 v10, v10, v11, v13
	s_delay_alu instid0(VALU_DEP_1) | instskip(NEXT) | instid1(VALU_DEP_1)
	v_div_fixup_f32 v5, v10, v9, 1.0
	v_mul_f32_e32 v0, v5, v0
	v_mul_f32_e32 v4, v5, v4
	ds_store_2addr_b32 v3, v0, v4 offset0:60 offset1:68
.LBB3_2:
	s_or_b32 exec_lo, exec_lo, s0
	s_waitcnt vmcnt(0) lgkmcnt(0)
	s_waitcnt_vscnt null, 0x0
	; wave barrier
	s_waitcnt lgkmcnt(0)
	buffer_gl0_inv
	ds_load_b32 v0, v3 offset:240
	s_waitcnt lgkmcnt(0)
	global_store_b32 v[1:2], v0, off
	s_nop 0
	s_sendmsg sendmsg(MSG_DEALLOC_VGPRS)
	s_endpgm
	.section	.rodata,"a",@progbits
	.p2align	6, 0x0
	.amdhsa_kernel _ZN9rocsparseL49gtsv_nopivot_strided_batch_pcr_pow2_shared_kernelILj16EfEEviiiPKT0_S3_S3_PS1_
		.amdhsa_group_segment_fixed_size 388
		.amdhsa_private_segment_fixed_size 0
		.amdhsa_kernarg_size 48
		.amdhsa_user_sgpr_count 15
		.amdhsa_user_sgpr_dispatch_ptr 0
		.amdhsa_user_sgpr_queue_ptr 0
		.amdhsa_user_sgpr_kernarg_segment_ptr 1
		.amdhsa_user_sgpr_dispatch_id 0
		.amdhsa_user_sgpr_private_segment_size 0
		.amdhsa_wavefront_size32 1
		.amdhsa_uses_dynamic_stack 0
		.amdhsa_enable_private_segment 0
		.amdhsa_system_sgpr_workgroup_id_x 1
		.amdhsa_system_sgpr_workgroup_id_y 0
		.amdhsa_system_sgpr_workgroup_id_z 0
		.amdhsa_system_sgpr_workgroup_info 0
		.amdhsa_system_vgpr_workitem_id 0
		.amdhsa_next_free_vgpr 25
		.amdhsa_next_free_sgpr 16
		.amdhsa_reserve_vcc 1
		.amdhsa_float_round_mode_32 0
		.amdhsa_float_round_mode_16_64 0
		.amdhsa_float_denorm_mode_32 3
		.amdhsa_float_denorm_mode_16_64 3
		.amdhsa_dx10_clamp 1
		.amdhsa_ieee_mode 1
		.amdhsa_fp16_overflow 0
		.amdhsa_workgroup_processor_mode 1
		.amdhsa_memory_ordered 1
		.amdhsa_forward_progress 0
		.amdhsa_shared_vgpr_count 0
		.amdhsa_exception_fp_ieee_invalid_op 0
		.amdhsa_exception_fp_denorm_src 0
		.amdhsa_exception_fp_ieee_div_zero 0
		.amdhsa_exception_fp_ieee_overflow 0
		.amdhsa_exception_fp_ieee_underflow 0
		.amdhsa_exception_fp_ieee_inexact 0
		.amdhsa_exception_int_div_zero 0
	.end_amdhsa_kernel
	.section	.text._ZN9rocsparseL49gtsv_nopivot_strided_batch_pcr_pow2_shared_kernelILj16EfEEviiiPKT0_S3_S3_PS1_,"axG",@progbits,_ZN9rocsparseL49gtsv_nopivot_strided_batch_pcr_pow2_shared_kernelILj16EfEEviiiPKT0_S3_S3_PS1_,comdat
.Lfunc_end3:
	.size	_ZN9rocsparseL49gtsv_nopivot_strided_batch_pcr_pow2_shared_kernelILj16EfEEviiiPKT0_S3_S3_PS1_, .Lfunc_end3-_ZN9rocsparseL49gtsv_nopivot_strided_batch_pcr_pow2_shared_kernelILj16EfEEviiiPKT0_S3_S3_PS1_
                                        ; -- End function
	.section	.AMDGPU.csdata,"",@progbits
; Kernel info:
; codeLenInByte = 1568
; NumSgprs: 18
; NumVgprs: 25
; ScratchSize: 0
; MemoryBound: 0
; FloatMode: 240
; IeeeMode: 1
; LDSByteSize: 388 bytes/workgroup (compile time only)
; SGPRBlocks: 2
; VGPRBlocks: 3
; NumSGPRsForWavesPerEU: 18
; NumVGPRsForWavesPerEU: 25
; Occupancy: 16
; WaveLimiterHint : 0
; COMPUTE_PGM_RSRC2:SCRATCH_EN: 0
; COMPUTE_PGM_RSRC2:USER_SGPR: 15
; COMPUTE_PGM_RSRC2:TRAP_HANDLER: 0
; COMPUTE_PGM_RSRC2:TGID_X_EN: 1
; COMPUTE_PGM_RSRC2:TGID_Y_EN: 0
; COMPUTE_PGM_RSRC2:TGID_Z_EN: 0
; COMPUTE_PGM_RSRC2:TIDIG_COMP_CNT: 0
	.section	.text._ZN9rocsparseL49gtsv_nopivot_strided_batch_pcr_pow2_shared_kernelILj32EfEEviiiPKT0_S3_S3_PS1_,"axG",@progbits,_ZN9rocsparseL49gtsv_nopivot_strided_batch_pcr_pow2_shared_kernelILj32EfEEviiiPKT0_S3_S3_PS1_,comdat
	.globl	_ZN9rocsparseL49gtsv_nopivot_strided_batch_pcr_pow2_shared_kernelILj32EfEEviiiPKT0_S3_S3_PS1_ ; -- Begin function _ZN9rocsparseL49gtsv_nopivot_strided_batch_pcr_pow2_shared_kernelILj32EfEEviiiPKT0_S3_S3_PS1_
	.p2align	8
	.type	_ZN9rocsparseL49gtsv_nopivot_strided_batch_pcr_pow2_shared_kernelILj32EfEEviiiPKT0_S3_S3_PS1_,@function
_ZN9rocsparseL49gtsv_nopivot_strided_batch_pcr_pow2_shared_kernelILj32EfEEviiiPKT0_S3_S3_PS1_: ; @_ZN9rocsparseL49gtsv_nopivot_strided_batch_pcr_pow2_shared_kernelILj32EfEEviiiPKT0_S3_S3_PS1_
; %bb.0:
	s_clause 0x1
	s_load_b32 s8, s[0:1], 0x8
	s_load_b256 s[0:7], s[0:1], 0x10
	v_min_u32_e32 v9, 30, v0
	s_delay_alu instid0(VALU_DEP_1) | instskip(SKIP_2) | instid1(VALU_DEP_1)
	v_lshlrev_b32_e32 v13, 2, v9
	s_waitcnt lgkmcnt(0)
	v_mad_u64_u32 v[1:2], null, s15, s8, v[0:1]
	v_ashrrev_i32_e32 v2, 31, v1
	s_delay_alu instid0(VALU_DEP_1) | instskip(NEXT) | instid1(VALU_DEP_1)
	v_lshlrev_b64 v[1:2], 2, v[1:2]
	v_add_co_u32 v3, vcc_lo, s0, v1
	s_delay_alu instid0(VALU_DEP_2)
	v_add_co_ci_u32_e32 v4, vcc_lo, s1, v2, vcc_lo
	v_add_co_u32 v5, vcc_lo, s2, v1
	v_add_co_ci_u32_e32 v6, vcc_lo, s3, v2, vcc_lo
	v_add_co_u32 v7, vcc_lo, s4, v1
	;; [unrolled: 2-line block ×3, first 2 shown]
	v_add_co_ci_u32_e32 v2, vcc_lo, s7, v2, vcc_lo
	global_load_b32 v4, v[3:4], off
	global_load_b32 v5, v[5:6], off
	;; [unrolled: 1-line block ×4, first 2 shown]
	v_max_u32_e32 v8, 1, v0
	v_lshlrev_b32_e32 v3, 2, v0
	s_waitcnt vmcnt(2)
	ds_store_2addr_b32 v3, v4, v5 offset1:36
	s_waitcnt vmcnt(0)
	ds_store_2addr_b32 v3, v6, v7 offset0:72 offset1:144
	v_lshlrev_b32_e32 v12, 2, v8
	s_waitcnt vmcnt(0) lgkmcnt(0)
	s_waitcnt_vscnt null, 0x0
	; wave barrier
	s_waitcnt lgkmcnt(0)
	buffer_gl0_inv
	ds_load_2addr_b32 v[4:5], v3 offset1:36
	ds_load_2addr_b32 v[6:7], v12 offset0:35 offset1:71
	ds_load_2addr_b32 v[8:9], v3 offset0:72 offset1:144
	;; [unrolled: 1-line block ×3, first 2 shown]
	s_waitcnt lgkmcnt(2)
	v_div_scale_f32 v14, null, v6, v6, v4
	s_waitcnt lgkmcnt(0)
	v_div_scale_f32 v15, null, v11, v11, v8
	v_div_scale_f32 v20, vcc_lo, v4, v6, v4
	s_delay_alu instid0(VALU_DEP_3) | instskip(NEXT) | instid1(VALU_DEP_2)
	v_rcp_f32_e32 v16, v14
	v_rcp_f32_e32 v17, v15
	s_waitcnt_depctr 0xfff
	v_fma_f32 v18, -v14, v16, 1.0
	v_fma_f32 v19, -v15, v17, 1.0
	s_delay_alu instid0(VALU_DEP_1) | instskip(SKIP_2) | instid1(VALU_DEP_3)
	v_dual_fmac_f32 v16, v18, v16 :: v_dual_fmac_f32 v17, v19, v17
	v_div_scale_f32 v18, s0, v8, v11, v8
	v_add_nc_u32_e32 v24, -4, v12
	v_mul_f32_e32 v19, v20, v16
	s_delay_alu instid0(VALU_DEP_3) | instskip(NEXT) | instid1(VALU_DEP_2)
	v_mul_f32_e32 v21, v18, v17
	v_fma_f32 v22, -v14, v19, v20
	s_delay_alu instid0(VALU_DEP_2) | instskip(NEXT) | instid1(VALU_DEP_2)
	v_fma_f32 v23, -v15, v21, v18
	v_fmac_f32_e32 v19, v22, v16
	ds_load_b32 v22, v12 offset:572
	v_fmac_f32_e32 v21, v23, v17
	ds_load_b32 v23, v24
	ds_load_2addr_b32 v[12:13], v13 offset0:73 offset1:145
	s_waitcnt lgkmcnt(0)
	v_fma_f32 v14, -v14, v19, v20
	; wave barrier
	buffer_gl0_inv
	v_fma_f32 v15, -v15, v21, v18
	v_div_fmas_f32 v14, v14, v16, v19
	s_mov_b32 vcc_lo, s0
	s_delay_alu instid0(VALU_DEP_2) | instskip(NEXT) | instid1(VALU_DEP_2)
	v_div_fmas_f32 v15, v15, v17, v21
	v_div_fixup_f32 v4, v14, v6, v4
	v_max_u32_e32 v6, 2, v0
	v_min_u32_e32 v14, 29, v0
	s_delay_alu instid0(VALU_DEP_4) | instskip(NEXT) | instid1(VALU_DEP_4)
	v_div_fixup_f32 v8, v15, v11, v8
	v_fma_f32 v5, -v4, v7, v5
	v_fma_f32 v7, -v4, v22, v9
	v_mul_f32_e64 v4, v4, -v23
	v_lshlrev_b32_e32 v15, 2, v6
	v_mul_f32_e64 v6, v8, -v12
	v_fma_f32 v5, -v8, v10, v5
	v_fma_f32 v7, -v8, v13, v7
	v_lshlrev_b32_e32 v12, 2, v14
	v_add_nc_u32_e32 v24, -8, v15
	ds_store_2addr_b32 v3, v4, v5 offset1:36
	ds_store_2addr_b32 v3, v6, v7 offset0:72 offset1:144
	s_waitcnt vmcnt(0) lgkmcnt(0)
	s_waitcnt_vscnt null, 0x0
	; wave barrier
	s_waitcnt lgkmcnt(0)
	buffer_gl0_inv
	ds_load_2addr_b32 v[4:5], v3 offset1:36
	ds_load_2addr_b32 v[6:7], v15 offset0:34 offset1:70
	ds_load_2addr_b32 v[8:9], v3 offset0:72 offset1:144
	;; [unrolled: 1-line block ×3, first 2 shown]
	ds_load_b32 v15, v15 offset:568
	s_waitcnt lgkmcnt(3)
	v_div_scale_f32 v14, null, v6, v6, v4
	s_waitcnt lgkmcnt(1)
	v_div_scale_f32 v16, null, v11, v11, v8
	v_div_scale_f32 v21, s0, v8, v11, v8
	s_delay_alu instid0(VALU_DEP_3) | instskip(NEXT) | instid1(VALU_DEP_2)
	v_rcp_f32_e32 v17, v14
	v_rcp_f32_e32 v18, v16
	v_div_scale_f32 v20, vcc_lo, v4, v6, v4
	s_waitcnt_depctr 0xfff
	v_fma_f32 v13, -v14, v17, 1.0
	v_fma_f32 v19, -v16, v18, 1.0
	s_delay_alu instid0(VALU_DEP_1) | instskip(NEXT) | instid1(VALU_DEP_1)
	v_fmac_f32_e32 v18, v19, v18
	v_mul_f32_e32 v22, v21, v18
	s_delay_alu instid0(VALU_DEP_1) | instskip(NEXT) | instid1(VALU_DEP_1)
	v_fma_f32 v23, -v16, v22, v21
	v_dual_fmac_f32 v17, v13, v17 :: v_dual_fmac_f32 v22, v23, v18
	s_delay_alu instid0(VALU_DEP_1) | instskip(NEXT) | instid1(VALU_DEP_2)
	v_mul_f32_e32 v19, v20, v17
	v_fma_f32 v16, -v16, v22, v21
	s_delay_alu instid0(VALU_DEP_2) | instskip(NEXT) | instid1(VALU_DEP_1)
	v_fma_f32 v13, -v14, v19, v20
	v_fmac_f32_e32 v19, v13, v17
	ds_load_b32 v23, v24
	ds_load_2addr_b32 v[12:13], v12 offset0:74 offset1:146
	s_waitcnt vmcnt(0) lgkmcnt(0)
	s_waitcnt_vscnt null, 0x0
	; wave barrier
	s_waitcnt lgkmcnt(0)
	buffer_gl0_inv
	v_fma_f32 v14, -v14, v19, v20
	s_delay_alu instid0(VALU_DEP_1) | instskip(SKIP_2) | instid1(VALU_DEP_2)
	v_div_fmas_f32 v14, v14, v17, v19
	s_mov_b32 vcc_lo, s0
	v_div_fmas_f32 v16, v16, v18, v22
	v_div_fixup_f32 v4, v14, v6, v4
	v_max_u32_e32 v6, 4, v0
	v_min_u32_e32 v14, 27, v0
	s_delay_alu instid0(VALU_DEP_4) | instskip(NEXT) | instid1(VALU_DEP_4)
	v_div_fixup_f32 v8, v16, v11, v8
	v_fma_f32 v5, -v4, v7, v5
	v_fma_f32 v7, -v4, v15, v9
	v_mul_f32_e64 v4, v4, -v23
	v_lshlrev_b32_e32 v15, 2, v6
	v_mul_f32_e64 v6, v8, -v12
	v_fma_f32 v5, -v8, v10, v5
	v_fma_f32 v7, -v8, v13, v7
	v_lshlrev_b32_e32 v12, 2, v14
	v_add_nc_u32_e32 v24, -16, v15
	ds_store_2addr_b32 v3, v4, v5 offset1:36
	ds_store_2addr_b32 v3, v6, v7 offset0:72 offset1:144
	s_waitcnt vmcnt(0) lgkmcnt(0)
	s_waitcnt_vscnt null, 0x0
	; wave barrier
	s_waitcnt lgkmcnt(0)
	buffer_gl0_inv
	ds_load_2addr_b32 v[4:5], v3 offset1:36
	ds_load_2addr_b32 v[6:7], v15 offset0:32 offset1:68
	ds_load_2addr_b32 v[8:9], v3 offset0:72 offset1:144
	ds_load_2addr_b32 v[10:11], v12 offset0:4 offset1:40
	ds_load_b32 v15, v15 offset:560
	s_waitcnt lgkmcnt(3)
	v_div_scale_f32 v14, null, v6, v6, v4
	s_waitcnt lgkmcnt(1)
	v_div_scale_f32 v16, null, v11, v11, v8
	v_div_scale_f32 v20, vcc_lo, v4, v6, v4
	s_delay_alu instid0(VALU_DEP_3) | instskip(NEXT) | instid1(VALU_DEP_2)
	v_rcp_f32_e32 v17, v14
	v_rcp_f32_e32 v18, v16
	v_div_scale_f32 v21, s0, v8, v11, v8
	s_waitcnt_depctr 0xfff
	v_fma_f32 v13, -v14, v17, 1.0
	v_fma_f32 v19, -v16, v18, 1.0
	s_delay_alu instid0(VALU_DEP_1) | instskip(NEXT) | instid1(VALU_DEP_1)
	v_dual_fmac_f32 v17, v13, v17 :: v_dual_fmac_f32 v18, v19, v18
	v_dual_mul_f32 v19, v20, v17 :: v_dual_mul_f32 v22, v21, v18
	s_delay_alu instid0(VALU_DEP_1) | instskip(NEXT) | instid1(VALU_DEP_2)
	v_fma_f32 v13, -v14, v19, v20
	v_fma_f32 v23, -v16, v22, v21
	s_delay_alu instid0(VALU_DEP_1)
	v_dual_fmac_f32 v19, v13, v17 :: v_dual_fmac_f32 v22, v23, v18
	ds_load_b32 v23, v24
	ds_load_2addr_b32 v[12:13], v12 offset0:76 offset1:148
	s_waitcnt vmcnt(0) lgkmcnt(0)
	s_waitcnt_vscnt null, 0x0
	; wave barrier
	s_waitcnt lgkmcnt(0)
	buffer_gl0_inv
	v_fma_f32 v14, -v14, v19, v20
	v_fma_f32 v16, -v16, v22, v21
	s_delay_alu instid0(VALU_DEP_2) | instskip(SKIP_1) | instid1(VALU_DEP_2)
	v_div_fmas_f32 v14, v14, v17, v19
	s_mov_b32 vcc_lo, s0
	v_div_fmas_f32 v16, v16, v18, v22
	s_delay_alu instid0(VALU_DEP_2) | instskip(SKIP_2) | instid1(VALU_DEP_4)
	v_div_fixup_f32 v4, v14, v6, v4
	v_max_u32_e32 v6, 8, v0
	v_min_u32_e32 v14, 23, v0
	v_div_fixup_f32 v8, v16, v11, v8
	s_delay_alu instid0(VALU_DEP_4)
	v_fma_f32 v5, -v4, v7, v5
	v_fma_f32 v7, -v4, v15, v9
	v_mul_f32_e64 v4, v4, -v23
	v_lshlrev_b32_e32 v15, 2, v6
	v_mul_f32_e64 v6, v8, -v12
	v_fma_f32 v5, -v8, v10, v5
	v_fma_f32 v7, -v8, v13, v7
	v_lshlrev_b32_e32 v12, 2, v14
	ds_store_2addr_b32 v3, v4, v5 offset1:36
	ds_store_2addr_b32 v3, v6, v7 offset0:72 offset1:144
	s_waitcnt vmcnt(0) lgkmcnt(0)
	s_waitcnt_vscnt null, 0x0
	; wave barrier
	s_waitcnt lgkmcnt(0)
	buffer_gl0_inv
	ds_load_2addr_b32 v[4:5], v3 offset1:36
	ds_load_2addr_b32 v[6:7], v15 offset0:28 offset1:64
	ds_load_2addr_b32 v[8:9], v3 offset0:72 offset1:144
	;; [unrolled: 1-line block ×3, first 2 shown]
	v_subrev_nc_u32_e32 v24, 32, v15
	ds_load_b32 v15, v15 offset:544
	s_waitcnt lgkmcnt(3)
	v_div_scale_f32 v14, null, v6, v6, v4
	s_waitcnt lgkmcnt(1)
	v_div_scale_f32 v16, null, v11, v11, v8
	v_div_scale_f32 v20, vcc_lo, v4, v6, v4
	s_delay_alu instid0(VALU_DEP_3) | instskip(NEXT) | instid1(VALU_DEP_2)
	v_rcp_f32_e32 v17, v14
	v_rcp_f32_e32 v18, v16
	v_div_scale_f32 v21, s0, v8, v11, v8
	s_waitcnt_depctr 0xfff
	v_fma_f32 v13, -v14, v17, 1.0
	v_fma_f32 v19, -v16, v18, 1.0
	s_delay_alu instid0(VALU_DEP_1) | instskip(NEXT) | instid1(VALU_DEP_1)
	v_dual_fmac_f32 v17, v13, v17 :: v_dual_fmac_f32 v18, v19, v18
	v_dual_mul_f32 v19, v20, v17 :: v_dual_mul_f32 v22, v21, v18
	s_delay_alu instid0(VALU_DEP_1) | instskip(NEXT) | instid1(VALU_DEP_2)
	v_fma_f32 v13, -v14, v19, v20
	v_fma_f32 v23, -v16, v22, v21
	s_delay_alu instid0(VALU_DEP_1)
	v_dual_fmac_f32 v19, v13, v17 :: v_dual_fmac_f32 v22, v23, v18
	ds_load_b32 v23, v24
	ds_load_2addr_b32 v[12:13], v12 offset0:80 offset1:152
	s_waitcnt vmcnt(0) lgkmcnt(0)
	s_waitcnt_vscnt null, 0x0
	; wave barrier
	s_waitcnt lgkmcnt(0)
	buffer_gl0_inv
	v_fma_f32 v14, -v14, v19, v20
	v_fma_f32 v16, -v16, v22, v21
	s_delay_alu instid0(VALU_DEP_2) | instskip(SKIP_2) | instid1(VALU_DEP_2)
	v_div_fmas_f32 v14, v14, v17, v19
	s_mov_b32 vcc_lo, s0
	s_mov_b32 s0, exec_lo
	v_div_fmas_f32 v16, v16, v18, v22
	s_delay_alu instid0(VALU_DEP_2) | instskip(NEXT) | instid1(VALU_DEP_2)
	v_div_fixup_f32 v4, v14, v6, v4
	v_div_fixup_f32 v6, v16, v11, v8
	s_delay_alu instid0(VALU_DEP_2) | instskip(SKIP_2) | instid1(VALU_DEP_4)
	v_fma_f32 v5, -v4, v7, v5
	v_fma_f32 v7, -v4, v15, v9
	v_mul_f32_e64 v4, v4, -v23
	v_mul_f32_e64 v8, v6, -v12
	s_delay_alu instid0(VALU_DEP_4) | instskip(NEXT) | instid1(VALU_DEP_4)
	v_fma_f32 v5, -v6, v10, v5
	v_fma_f32 v6, -v6, v13, v7
	ds_store_2addr_b32 v3, v4, v5 offset1:36
	ds_store_2addr_b32 v3, v8, v6 offset0:72 offset1:144
	s_waitcnt vmcnt(0) lgkmcnt(0)
	s_waitcnt_vscnt null, 0x0
	; wave barrier
	s_waitcnt lgkmcnt(0)
	buffer_gl0_inv
	v_cmpx_gt_u32_e32 16, v0
	s_cbranch_execz .LBB4_2
; %bb.1:
	v_add_nc_u32_e32 v0, 0x120, v3
	v_add_nc_u32_e32 v4, 0x90, v3
	ds_load_b32 v0, v0
	ds_load_b32 v8, v3 offset:64
	ds_load_2addr_b32 v[4:5], v4 offset1:16
	s_waitcnt lgkmcnt(1)
	v_dual_mul_f32 v6, v0, v8 :: v_dual_add_nc_u32 v7, 0x240, v3
	s_waitcnt lgkmcnt(0)
	s_delay_alu instid0(VALU_DEP_1) | instskip(NEXT) | instid1(VALU_DEP_1)
	v_fma_f32 v9, v5, v4, -v6
	v_div_scale_f32 v10, null, v9, v9, 1.0
	v_div_scale_f32 v12, vcc_lo, 1.0, v9, 1.0
	s_delay_alu instid0(VALU_DEP_2) | instskip(SKIP_2) | instid1(VALU_DEP_1)
	v_rcp_f32_e32 v11, v10
	s_waitcnt_depctr 0xfff
	v_fma_f32 v6, -v10, v11, 1.0
	v_fmac_f32_e32 v11, v6, v11
	ds_load_2addr_b32 v[6:7], v7 offset1:16
	s_waitcnt lgkmcnt(0)
	v_mul_f32_e32 v8, v8, v6
	v_mul_f32_e32 v0, v0, v7
	s_delay_alu instid0(VALU_DEP_2) | instskip(NEXT) | instid1(VALU_DEP_2)
	v_fma_f32 v4, v4, v7, -v8
	v_fma_f32 v0, v5, v6, -v0
	v_mul_f32_e32 v13, v12, v11
	s_delay_alu instid0(VALU_DEP_1) | instskip(NEXT) | instid1(VALU_DEP_1)
	v_fma_f32 v14, -v10, v13, v12
	v_fmac_f32_e32 v13, v14, v11
	s_delay_alu instid0(VALU_DEP_1) | instskip(NEXT) | instid1(VALU_DEP_1)
	v_fma_f32 v10, -v10, v13, v12
	v_div_fmas_f32 v10, v10, v11, v13
	s_delay_alu instid0(VALU_DEP_1) | instskip(NEXT) | instid1(VALU_DEP_1)
	v_div_fixup_f32 v5, v10, v9, 1.0
	v_mul_f32_e32 v4, v5, v4
	v_mul_f32_e32 v0, v5, v0
	ds_store_2addr_b32 v3, v0, v4 offset0:108 offset1:124
.LBB4_2:
	s_or_b32 exec_lo, exec_lo, s0
	s_waitcnt vmcnt(0) lgkmcnt(0)
	s_waitcnt_vscnt null, 0x0
	; wave barrier
	s_waitcnt lgkmcnt(0)
	buffer_gl0_inv
	ds_load_b32 v0, v3 offset:432
	s_waitcnt lgkmcnt(0)
	global_store_b32 v[1:2], v0, off
	s_nop 0
	s_sendmsg sendmsg(MSG_DEALLOC_VGPRS)
	s_endpgm
	.section	.rodata,"a",@progbits
	.p2align	6, 0x0
	.amdhsa_kernel _ZN9rocsparseL49gtsv_nopivot_strided_batch_pcr_pow2_shared_kernelILj32EfEEviiiPKT0_S3_S3_PS1_
		.amdhsa_group_segment_fixed_size 708
		.amdhsa_private_segment_fixed_size 0
		.amdhsa_kernarg_size 48
		.amdhsa_user_sgpr_count 15
		.amdhsa_user_sgpr_dispatch_ptr 0
		.amdhsa_user_sgpr_queue_ptr 0
		.amdhsa_user_sgpr_kernarg_segment_ptr 1
		.amdhsa_user_sgpr_dispatch_id 0
		.amdhsa_user_sgpr_private_segment_size 0
		.amdhsa_wavefront_size32 1
		.amdhsa_uses_dynamic_stack 0
		.amdhsa_enable_private_segment 0
		.amdhsa_system_sgpr_workgroup_id_x 1
		.amdhsa_system_sgpr_workgroup_id_y 0
		.amdhsa_system_sgpr_workgroup_id_z 0
		.amdhsa_system_sgpr_workgroup_info 0
		.amdhsa_system_vgpr_workitem_id 0
		.amdhsa_next_free_vgpr 25
		.amdhsa_next_free_sgpr 16
		.amdhsa_reserve_vcc 1
		.amdhsa_float_round_mode_32 0
		.amdhsa_float_round_mode_16_64 0
		.amdhsa_float_denorm_mode_32 3
		.amdhsa_float_denorm_mode_16_64 3
		.amdhsa_dx10_clamp 1
		.amdhsa_ieee_mode 1
		.amdhsa_fp16_overflow 0
		.amdhsa_workgroup_processor_mode 1
		.amdhsa_memory_ordered 1
		.amdhsa_forward_progress 0
		.amdhsa_shared_vgpr_count 0
		.amdhsa_exception_fp_ieee_invalid_op 0
		.amdhsa_exception_fp_denorm_src 0
		.amdhsa_exception_fp_ieee_div_zero 0
		.amdhsa_exception_fp_ieee_overflow 0
		.amdhsa_exception_fp_ieee_underflow 0
		.amdhsa_exception_fp_ieee_inexact 0
		.amdhsa_exception_int_div_zero 0
	.end_amdhsa_kernel
	.section	.text._ZN9rocsparseL49gtsv_nopivot_strided_batch_pcr_pow2_shared_kernelILj32EfEEviiiPKT0_S3_S3_PS1_,"axG",@progbits,_ZN9rocsparseL49gtsv_nopivot_strided_batch_pcr_pow2_shared_kernelILj32EfEEviiiPKT0_S3_S3_PS1_,comdat
.Lfunc_end4:
	.size	_ZN9rocsparseL49gtsv_nopivot_strided_batch_pcr_pow2_shared_kernelILj32EfEEviiiPKT0_S3_S3_PS1_, .Lfunc_end4-_ZN9rocsparseL49gtsv_nopivot_strided_batch_pcr_pow2_shared_kernelILj32EfEEviiiPKT0_S3_S3_PS1_
                                        ; -- End function
	.section	.AMDGPU.csdata,"",@progbits
; Kernel info:
; codeLenInByte = 1936
; NumSgprs: 18
; NumVgprs: 25
; ScratchSize: 0
; MemoryBound: 0
; FloatMode: 240
; IeeeMode: 1
; LDSByteSize: 708 bytes/workgroup (compile time only)
; SGPRBlocks: 2
; VGPRBlocks: 3
; NumSGPRsForWavesPerEU: 18
; NumVGPRsForWavesPerEU: 25
; Occupancy: 16
; WaveLimiterHint : 0
; COMPUTE_PGM_RSRC2:SCRATCH_EN: 0
; COMPUTE_PGM_RSRC2:USER_SGPR: 15
; COMPUTE_PGM_RSRC2:TRAP_HANDLER: 0
; COMPUTE_PGM_RSRC2:TGID_X_EN: 1
; COMPUTE_PGM_RSRC2:TGID_Y_EN: 0
; COMPUTE_PGM_RSRC2:TGID_Z_EN: 0
; COMPUTE_PGM_RSRC2:TIDIG_COMP_CNT: 0
	.section	.text._ZN9rocsparseL49gtsv_nopivot_strided_batch_pcr_pow2_shared_kernelILj64EfEEviiiPKT0_S3_S3_PS1_,"axG",@progbits,_ZN9rocsparseL49gtsv_nopivot_strided_batch_pcr_pow2_shared_kernelILj64EfEEviiiPKT0_S3_S3_PS1_,comdat
	.globl	_ZN9rocsparseL49gtsv_nopivot_strided_batch_pcr_pow2_shared_kernelILj64EfEEviiiPKT0_S3_S3_PS1_ ; -- Begin function _ZN9rocsparseL49gtsv_nopivot_strided_batch_pcr_pow2_shared_kernelILj64EfEEviiiPKT0_S3_S3_PS1_
	.p2align	8
	.type	_ZN9rocsparseL49gtsv_nopivot_strided_batch_pcr_pow2_shared_kernelILj64EfEEviiiPKT0_S3_S3_PS1_,@function
_ZN9rocsparseL49gtsv_nopivot_strided_batch_pcr_pow2_shared_kernelILj64EfEEviiiPKT0_S3_S3_PS1_: ; @_ZN9rocsparseL49gtsv_nopivot_strided_batch_pcr_pow2_shared_kernelILj64EfEEviiiPKT0_S3_S3_PS1_
; %bb.0:
	s_clause 0x1
	s_load_b32 s8, s[0:1], 0x8
	s_load_b256 s[0:7], s[0:1], 0x10
	v_min_u32_e32 v9, 62, v0
	s_delay_alu instid0(VALU_DEP_1) | instskip(SKIP_2) | instid1(VALU_DEP_1)
	v_lshlrev_b32_e32 v13, 2, v9
	s_waitcnt lgkmcnt(0)
	v_mad_u64_u32 v[1:2], null, s15, s8, v[0:1]
	v_ashrrev_i32_e32 v2, 31, v1
	s_delay_alu instid0(VALU_DEP_1) | instskip(NEXT) | instid1(VALU_DEP_1)
	v_lshlrev_b64 v[1:2], 2, v[1:2]
	v_add_co_u32 v3, vcc_lo, s0, v1
	s_delay_alu instid0(VALU_DEP_2)
	v_add_co_ci_u32_e32 v4, vcc_lo, s1, v2, vcc_lo
	v_add_co_u32 v5, vcc_lo, s2, v1
	v_add_co_ci_u32_e32 v6, vcc_lo, s3, v2, vcc_lo
	v_add_co_u32 v7, vcc_lo, s4, v1
	;; [unrolled: 2-line block ×3, first 2 shown]
	v_add_co_ci_u32_e32 v2, vcc_lo, s7, v2, vcc_lo
	global_load_b32 v4, v[3:4], off
	global_load_b32 v5, v[5:6], off
	;; [unrolled: 1-line block ×4, first 2 shown]
	v_lshlrev_b32_e32 v3, 2, v0
	v_max_u32_e32 v8, 1, v0
	s_delay_alu instid0(VALU_DEP_2) | instskip(NEXT) | instid1(VALU_DEP_2)
	v_add_nc_u32_e32 v14, 0x200, v3
	v_lshlrev_b32_e32 v12, 2, v8
	s_waitcnt vmcnt(2)
	ds_store_2addr_b32 v3, v4, v5 offset1:68
	s_waitcnt vmcnt(0)
	ds_store_2addr_b32 v14, v6, v7 offset0:8 offset1:144
	s_waitcnt lgkmcnt(0)
	s_barrier
	buffer_gl0_inv
	ds_load_2addr_b32 v[4:5], v3 offset1:68
	ds_load_2addr_b32 v[6:7], v12 offset0:67 offset1:135
	ds_load_2addr_b32 v[8:9], v14 offset0:8 offset1:144
	;; [unrolled: 1-line block ×3, first 2 shown]
	v_add_nc_u32_e32 v25, -4, v12
	s_waitcnt lgkmcnt(2)
	v_div_scale_f32 v15, null, v6, v6, v4
	s_waitcnt lgkmcnt(0)
	v_div_scale_f32 v16, null, v11, v11, v8
	v_div_scale_f32 v21, vcc_lo, v4, v6, v4
	s_delay_alu instid0(VALU_DEP_3) | instskip(NEXT) | instid1(VALU_DEP_2)
	v_rcp_f32_e32 v17, v15
	v_rcp_f32_e32 v18, v16
	s_waitcnt_depctr 0xfff
	v_fma_f32 v19, -v15, v17, 1.0
	v_fma_f32 v20, -v16, v18, 1.0
	s_delay_alu instid0(VALU_DEP_2) | instskip(SKIP_1) | instid1(VALU_DEP_3)
	v_fmac_f32_e32 v17, v19, v17
	v_div_scale_f32 v19, s0, v8, v11, v8
	v_fmac_f32_e32 v18, v20, v18
	s_delay_alu instid0(VALU_DEP_3) | instskip(NEXT) | instid1(VALU_DEP_2)
	v_mul_f32_e32 v20, v21, v17
	v_mul_f32_e32 v22, v19, v18
	s_delay_alu instid0(VALU_DEP_2) | instskip(NEXT) | instid1(VALU_DEP_2)
	v_fma_f32 v23, -v15, v20, v21
	v_fma_f32 v24, -v16, v22, v19
	v_add_nc_u32_e32 v13, 0x200, v13
	s_delay_alu instid0(VALU_DEP_3)
	v_fmac_f32_e32 v20, v23, v17
	ds_load_b32 v23, v12 offset:1084
	v_fmac_f32_e32 v22, v24, v18
	ds_load_b32 v24, v25
	ds_load_2addr_b32 v[12:13], v13 offset0:9 offset1:145
	v_fma_f32 v15, -v15, v20, v21
	s_waitcnt lgkmcnt(0)
	s_barrier
	v_fma_f32 v16, -v16, v22, v19
	buffer_gl0_inv
	v_div_fmas_f32 v15, v15, v17, v20
	s_mov_b32 vcc_lo, s0
	v_max_u32_e32 v17, 2, v0
	v_div_fmas_f32 v16, v16, v18, v22
	s_delay_alu instid0(VALU_DEP_3) | instskip(SKIP_1) | instid1(VALU_DEP_4)
	v_div_fixup_f32 v4, v15, v6, v4
	v_min_u32_e32 v6, 61, v0
	v_lshlrev_b32_e32 v15, 2, v17
	s_delay_alu instid0(VALU_DEP_4) | instskip(NEXT) | instid1(VALU_DEP_4)
	v_div_fixup_f32 v8, v16, v11, v8
	v_fma_f32 v5, -v4, v7, v5
	v_fma_f32 v7, -v4, v23, v9
	v_lshlrev_b32_e32 v16, 2, v6
	v_mul_f32_e64 v4, v4, -v24
	v_mul_f32_e64 v6, v8, -v12
	v_fma_f32 v5, -v8, v10, v5
	v_fma_f32 v7, -v8, v13, v7
	ds_store_2addr_b32 v3, v4, v5 offset1:68
	ds_store_2addr_b32 v14, v6, v7 offset0:8 offset1:144
	s_waitcnt lgkmcnt(0)
	s_barrier
	buffer_gl0_inv
	ds_load_2addr_b32 v[4:5], v3 offset1:68
	ds_load_2addr_b32 v[6:7], v15 offset0:66 offset1:134
	ds_load_2addr_b32 v[8:9], v14 offset0:8 offset1:144
	;; [unrolled: 1-line block ×3, first 2 shown]
	s_waitcnt lgkmcnt(2)
	v_div_scale_f32 v17, null, v6, v6, v4
	s_waitcnt lgkmcnt(0)
	v_div_scale_f32 v18, null, v11, v11, v8
	v_div_scale_f32 v21, vcc_lo, v4, v6, v4
	s_delay_alu instid0(VALU_DEP_3) | instskip(NEXT) | instid1(VALU_DEP_2)
	v_rcp_f32_e32 v19, v17
	v_rcp_f32_e32 v20, v18
	v_div_scale_f32 v22, s0, v8, v11, v8
	s_waitcnt_depctr 0xfff
	v_fma_f32 v12, -v17, v19, 1.0
	v_fma_f32 v13, -v18, v20, 1.0
	s_delay_alu instid0(VALU_DEP_1) | instskip(SKIP_3) | instid1(VALU_DEP_1)
	v_dual_fmac_f32 v19, v12, v19 :: v_dual_fmac_f32 v20, v13, v20
	v_add_nc_u32_e32 v25, -8, v15
	ds_load_b32 v15, v15 offset:1080
	v_dual_mul_f32 v23, v21, v19 :: v_dual_mul_f32 v24, v22, v20
	v_fma_f32 v12, -v17, v23, v21
	s_delay_alu instid0(VALU_DEP_2) | instskip(NEXT) | instid1(VALU_DEP_2)
	v_fma_f32 v13, -v18, v24, v22
	v_dual_fmac_f32 v23, v12, v19 :: v_dual_add_nc_u32 v16, 0x200, v16
	s_delay_alu instid0(VALU_DEP_2)
	v_fmac_f32_e32 v24, v13, v20
	ds_load_b32 v25, v25
	ds_load_2addr_b32 v[12:13], v16 offset0:10 offset1:146
	v_fma_f32 v16, -v17, v23, v21
	s_waitcnt lgkmcnt(0)
	s_barrier
	buffer_gl0_inv
	v_div_fmas_f32 v16, v16, v19, v23
	s_mov_b32 vcc_lo, s0
	s_delay_alu instid0(VALU_DEP_1) | instskip(SKIP_1) | instid1(VALU_DEP_2)
	v_div_fixup_f32 v4, v16, v6, v4
	v_min_u32_e32 v6, 59, v0
	v_fma_f32 v5, -v4, v7, v5
	v_fma_f32 v7, -v4, v15, v9
	s_delay_alu instid0(VALU_DEP_3) | instskip(SKIP_3) | instid1(VALU_DEP_3)
	v_lshlrev_b32_e32 v15, 2, v6
	v_fma_f32 v17, -v18, v24, v22
	v_max_u32_e32 v18, 4, v0
	v_mul_f32_e64 v4, v4, -v25
	v_div_fmas_f32 v17, v17, v20, v24
	s_delay_alu instid0(VALU_DEP_3) | instskip(NEXT) | instid1(VALU_DEP_2)
	v_lshlrev_b32_e32 v16, 2, v18
	v_div_fixup_f32 v8, v17, v11, v8
	s_delay_alu instid0(VALU_DEP_1)
	v_fma_f32 v5, -v8, v10, v5
	v_mul_f32_e64 v6, v8, -v12
	v_fma_f32 v7, -v8, v13, v7
	ds_store_2addr_b32 v3, v4, v5 offset1:68
	ds_store_2addr_b32 v14, v6, v7 offset0:8 offset1:144
	s_waitcnt lgkmcnt(0)
	s_barrier
	buffer_gl0_inv
	ds_load_2addr_b32 v[4:5], v3 offset1:68
	ds_load_2addr_b32 v[6:7], v16 offset0:64 offset1:132
	ds_load_2addr_b32 v[8:9], v14 offset0:8 offset1:144
	;; [unrolled: 1-line block ×3, first 2 shown]
	v_add_nc_u32_e32 v15, 0x200, v15
	s_waitcnt lgkmcnt(2)
	v_div_scale_f32 v17, null, v6, v6, v4
	s_waitcnt lgkmcnt(0)
	v_div_scale_f32 v18, null, v11, v11, v8
	v_div_scale_f32 v21, vcc_lo, v4, v6, v4
	s_delay_alu instid0(VALU_DEP_3) | instskip(NEXT) | instid1(VALU_DEP_2)
	v_rcp_f32_e32 v19, v17
	v_rcp_f32_e32 v20, v18
	v_div_scale_f32 v22, s0, v8, v11, v8
	s_waitcnt_depctr 0xfff
	v_fma_f32 v12, -v17, v19, 1.0
	v_fma_f32 v13, -v18, v20, 1.0
	s_delay_alu instid0(VALU_DEP_1) | instskip(NEXT) | instid1(VALU_DEP_1)
	v_dual_fmac_f32 v19, v12, v19 :: v_dual_fmac_f32 v20, v13, v20
	v_mul_f32_e32 v23, v21, v19
	v_add_nc_u32_e32 v25, -16, v16
	ds_load_b32 v16, v16 offset:1072
	v_fma_f32 v12, -v17, v23, v21
	s_delay_alu instid0(VALU_DEP_1) | instskip(NEXT) | instid1(VALU_DEP_1)
	v_dual_mul_f32 v24, v22, v20 :: v_dual_fmac_f32 v23, v12, v19
	v_fma_f32 v13, -v18, v24, v22
	s_delay_alu instid0(VALU_DEP_1)
	v_fmac_f32_e32 v24, v13, v20
	ds_load_b32 v25, v25
	ds_load_2addr_b32 v[12:13], v15 offset0:12 offset1:148
	v_fma_f32 v15, -v17, v23, v21
	s_waitcnt lgkmcnt(0)
	s_barrier
	v_fma_f32 v17, -v18, v24, v22
	v_max_u32_e32 v18, 8, v0
	v_div_fmas_f32 v15, v15, v19, v23
	s_mov_b32 vcc_lo, s0
	buffer_gl0_inv
	v_div_fixup_f32 v4, v15, v6, v4
	v_lshlrev_b32_e32 v15, 2, v18
	v_div_fmas_f32 v17, v17, v20, v24
	v_min_u32_e32 v6, 55, v0
	s_delay_alu instid0(VALU_DEP_4) | instskip(SKIP_1) | instid1(VALU_DEP_4)
	v_fma_f32 v5, -v4, v7, v5
	v_fma_f32 v7, -v4, v16, v9
	v_div_fixup_f32 v8, v17, v11, v8
	v_mul_f32_e64 v4, v4, -v25
	v_lshlrev_b32_e32 v16, 2, v6
	v_subrev_nc_u32_e32 v25, 32, v15
	s_delay_alu instid0(VALU_DEP_4)
	v_fma_f32 v5, -v8, v10, v5
	v_mul_f32_e64 v6, v8, -v12
	v_fma_f32 v7, -v8, v13, v7
	ds_store_2addr_b32 v3, v4, v5 offset1:68
	ds_store_2addr_b32 v14, v6, v7 offset0:8 offset1:144
	s_waitcnt lgkmcnt(0)
	s_barrier
	buffer_gl0_inv
	ds_load_2addr_b32 v[4:5], v3 offset1:68
	ds_load_2addr_b32 v[6:7], v15 offset0:60 offset1:128
	ds_load_2addr_b32 v[8:9], v14 offset0:8 offset1:144
	;; [unrolled: 1-line block ×3, first 2 shown]
	ds_load_b32 v15, v15 offset:1056
	s_waitcnt lgkmcnt(3)
	v_div_scale_f32 v17, null, v6, v6, v4
	s_waitcnt lgkmcnt(1)
	v_div_scale_f32 v18, null, v11, v11, v8
	v_div_scale_f32 v21, vcc_lo, v4, v6, v4
	s_delay_alu instid0(VALU_DEP_3) | instskip(NEXT) | instid1(VALU_DEP_2)
	v_rcp_f32_e32 v19, v17
	v_rcp_f32_e32 v20, v18
	v_div_scale_f32 v22, s0, v8, v11, v8
	s_waitcnt_depctr 0xfff
	v_fma_f32 v12, -v17, v19, 1.0
	v_fma_f32 v13, -v18, v20, 1.0
	s_delay_alu instid0(VALU_DEP_2) | instskip(NEXT) | instid1(VALU_DEP_1)
	v_dual_fmac_f32 v19, v12, v19 :: v_dual_add_nc_u32 v16, 0x200, v16
	v_mul_f32_e32 v23, v21, v19
	s_delay_alu instid0(VALU_DEP_1) | instskip(NEXT) | instid1(VALU_DEP_1)
	v_fma_f32 v12, -v17, v23, v21
	v_dual_fmac_f32 v20, v13, v20 :: v_dual_fmac_f32 v23, v12, v19
	s_delay_alu instid0(VALU_DEP_1) | instskip(NEXT) | instid1(VALU_DEP_1)
	v_mul_f32_e32 v24, v22, v20
	v_fma_f32 v13, -v18, v24, v22
	s_delay_alu instid0(VALU_DEP_1)
	v_fmac_f32_e32 v24, v13, v20
	ds_load_b32 v25, v25
	ds_load_2addr_b32 v[12:13], v16 offset0:16 offset1:152
	v_fma_f32 v16, -v17, v23, v21
	s_waitcnt lgkmcnt(0)
	s_barrier
	buffer_gl0_inv
	v_div_fmas_f32 v16, v16, v19, v23
	s_mov_b32 vcc_lo, s0
	s_delay_alu instid0(VALU_DEP_1) | instskip(SKIP_1) | instid1(VALU_DEP_2)
	v_div_fixup_f32 v4, v16, v6, v4
	v_min_u32_e32 v6, 47, v0
	v_fma_f32 v5, -v4, v7, v5
	v_fma_f32 v7, -v4, v15, v9
	s_delay_alu instid0(VALU_DEP_3) | instskip(SKIP_3) | instid1(VALU_DEP_3)
	v_lshlrev_b32_e32 v15, 2, v6
	v_fma_f32 v17, -v18, v24, v22
	v_max_u32_e32 v18, 16, v0
	v_mul_f32_e64 v4, v4, -v25
	v_div_fmas_f32 v17, v17, v20, v24
	s_delay_alu instid0(VALU_DEP_3) | instskip(NEXT) | instid1(VALU_DEP_2)
	v_lshlrev_b32_e32 v16, 2, v18
	v_div_fixup_f32 v8, v17, v11, v8
	s_delay_alu instid0(VALU_DEP_1)
	v_fma_f32 v5, -v8, v10, v5
	v_mul_f32_e64 v6, v8, -v12
	v_fma_f32 v7, -v8, v13, v7
	ds_store_2addr_b32 v3, v4, v5 offset1:68
	ds_store_2addr_b32 v14, v6, v7 offset0:8 offset1:144
	s_waitcnt lgkmcnt(0)
	s_barrier
	buffer_gl0_inv
	ds_load_2addr_b32 v[4:5], v3 offset1:68
	ds_load_2addr_b32 v[6:7], v16 offset0:52 offset1:120
	ds_load_2addr_b32 v[8:9], v14 offset0:8 offset1:144
	;; [unrolled: 1-line block ×3, first 2 shown]
	v_add_nc_u32_e32 v15, 0x200, v15
	s_waitcnt lgkmcnt(2)
	v_div_scale_f32 v17, null, v6, v6, v4
	s_waitcnt lgkmcnt(0)
	v_div_scale_f32 v18, null, v11, v11, v8
	v_div_scale_f32 v21, vcc_lo, v4, v6, v4
	s_delay_alu instid0(VALU_DEP_3) | instskip(NEXT) | instid1(VALU_DEP_2)
	v_rcp_f32_e32 v19, v17
	v_rcp_f32_e32 v20, v18
	v_div_scale_f32 v22, s0, v8, v11, v8
	s_waitcnt_depctr 0xfff
	v_fma_f32 v12, -v17, v19, 1.0
	v_fma_f32 v13, -v18, v20, 1.0
	s_delay_alu instid0(VALU_DEP_1) | instskip(NEXT) | instid1(VALU_DEP_1)
	v_dual_fmac_f32 v19, v12, v19 :: v_dual_fmac_f32 v20, v13, v20
	v_mul_f32_e32 v23, v21, v19
	v_subrev_nc_u32_e32 v25, 64, v16
	ds_load_b32 v16, v16 offset:1024
	v_fma_f32 v12, -v17, v23, v21
	s_delay_alu instid0(VALU_DEP_1) | instskip(NEXT) | instid1(VALU_DEP_1)
	v_dual_mul_f32 v24, v22, v20 :: v_dual_fmac_f32 v23, v12, v19
	v_fma_f32 v13, -v18, v24, v22
	s_delay_alu instid0(VALU_DEP_1)
	v_fmac_f32_e32 v24, v13, v20
	ds_load_b32 v25, v25
	ds_load_2addr_b32 v[12:13], v15 offset0:24 offset1:160
	v_fma_f32 v15, -v17, v23, v21
	s_waitcnt lgkmcnt(0)
	s_barrier
	v_fma_f32 v17, -v18, v24, v22
	buffer_gl0_inv
	v_div_fmas_f32 v15, v15, v19, v23
	s_mov_b32 vcc_lo, s0
	v_div_fmas_f32 v17, v17, v20, v24
	v_cmp_gt_u32_e32 vcc_lo, 32, v0
	s_delay_alu instid0(VALU_DEP_3) | instskip(NEXT) | instid1(VALU_DEP_3)
	v_div_fixup_f32 v4, v15, v6, v4
	v_div_fixup_f32 v6, v17, v11, v8
	s_delay_alu instid0(VALU_DEP_2) | instskip(SKIP_2) | instid1(VALU_DEP_4)
	v_fma_f32 v5, -v4, v7, v5
	v_fma_f32 v7, -v4, v16, v9
	v_mul_f32_e64 v0, v4, -v25
	v_mul_f32_e64 v4, v6, -v12
	s_delay_alu instid0(VALU_DEP_4) | instskip(NEXT) | instid1(VALU_DEP_4)
	v_fma_f32 v5, -v6, v10, v5
	v_fma_f32 v6, -v6, v13, v7
	ds_store_2addr_b32 v3, v0, v5 offset1:68
	ds_store_2addr_b32 v14, v4, v6 offset0:8 offset1:144
	s_waitcnt lgkmcnt(0)
	s_barrier
	buffer_gl0_inv
	s_and_saveexec_b32 s0, vcc_lo
	s_cbranch_execz .LBB5_2
; %bb.1:
	v_add_nc_u32_e32 v0, 0x220, v3
	v_add_nc_u32_e32 v4, 0x110, v3
	ds_load_b32 v0, v0
	ds_load_b32 v8, v3 offset:128
	ds_load_2addr_b32 v[4:5], v4 offset1:32
	s_waitcnt lgkmcnt(1)
	v_dual_mul_f32 v6, v0, v8 :: v_dual_add_nc_u32 v7, 0x440, v3
	s_waitcnt lgkmcnt(0)
	s_delay_alu instid0(VALU_DEP_1) | instskip(NEXT) | instid1(VALU_DEP_1)
	v_fma_f32 v9, v5, v4, -v6
	v_div_scale_f32 v10, null, v9, v9, 1.0
	v_div_scale_f32 v12, vcc_lo, 1.0, v9, 1.0
	s_delay_alu instid0(VALU_DEP_2) | instskip(SKIP_2) | instid1(VALU_DEP_1)
	v_rcp_f32_e32 v11, v10
	s_waitcnt_depctr 0xfff
	v_fma_f32 v6, -v10, v11, 1.0
	v_fmac_f32_e32 v11, v6, v11
	ds_load_2addr_b32 v[6:7], v7 offset1:32
	s_waitcnt lgkmcnt(0)
	v_mul_f32_e32 v8, v8, v6
	v_mul_f32_e32 v0, v0, v7
	s_delay_alu instid0(VALU_DEP_2) | instskip(NEXT) | instid1(VALU_DEP_2)
	v_fma_f32 v4, v4, v7, -v8
	v_fma_f32 v0, v5, v6, -v0
	v_mul_f32_e32 v13, v12, v11
	s_delay_alu instid0(VALU_DEP_1) | instskip(NEXT) | instid1(VALU_DEP_1)
	v_fma_f32 v14, -v10, v13, v12
	v_fmac_f32_e32 v13, v14, v11
	s_delay_alu instid0(VALU_DEP_1) | instskip(NEXT) | instid1(VALU_DEP_1)
	v_fma_f32 v10, -v10, v13, v12
	v_div_fmas_f32 v10, v10, v11, v13
	s_delay_alu instid0(VALU_DEP_1) | instskip(NEXT) | instid1(VALU_DEP_1)
	v_div_fixup_f32 v5, v10, v9, 1.0
	v_mul_f32_e32 v4, v5, v4
	v_mul_f32_e32 v0, v5, v0
	ds_store_2addr_b32 v3, v0, v4 offset0:204 offset1:236
.LBB5_2:
	s_or_b32 exec_lo, exec_lo, s0
	s_waitcnt lgkmcnt(0)
	s_barrier
	buffer_gl0_inv
	ds_load_b32 v0, v3 offset:816
	s_waitcnt lgkmcnt(0)
	global_store_b32 v[1:2], v0, off
	s_nop 0
	s_sendmsg sendmsg(MSG_DEALLOC_VGPRS)
	s_endpgm
	.section	.rodata,"a",@progbits
	.p2align	6, 0x0
	.amdhsa_kernel _ZN9rocsparseL49gtsv_nopivot_strided_batch_pcr_pow2_shared_kernelILj64EfEEviiiPKT0_S3_S3_PS1_
		.amdhsa_group_segment_fixed_size 1348
		.amdhsa_private_segment_fixed_size 0
		.amdhsa_kernarg_size 48
		.amdhsa_user_sgpr_count 15
		.amdhsa_user_sgpr_dispatch_ptr 0
		.amdhsa_user_sgpr_queue_ptr 0
		.amdhsa_user_sgpr_kernarg_segment_ptr 1
		.amdhsa_user_sgpr_dispatch_id 0
		.amdhsa_user_sgpr_private_segment_size 0
		.amdhsa_wavefront_size32 1
		.amdhsa_uses_dynamic_stack 0
		.amdhsa_enable_private_segment 0
		.amdhsa_system_sgpr_workgroup_id_x 1
		.amdhsa_system_sgpr_workgroup_id_y 0
		.amdhsa_system_sgpr_workgroup_id_z 0
		.amdhsa_system_sgpr_workgroup_info 0
		.amdhsa_system_vgpr_workitem_id 0
		.amdhsa_next_free_vgpr 26
		.amdhsa_next_free_sgpr 16
		.amdhsa_reserve_vcc 1
		.amdhsa_float_round_mode_32 0
		.amdhsa_float_round_mode_16_64 0
		.amdhsa_float_denorm_mode_32 3
		.amdhsa_float_denorm_mode_16_64 3
		.amdhsa_dx10_clamp 1
		.amdhsa_ieee_mode 1
		.amdhsa_fp16_overflow 0
		.amdhsa_workgroup_processor_mode 1
		.amdhsa_memory_ordered 1
		.amdhsa_forward_progress 0
		.amdhsa_shared_vgpr_count 0
		.amdhsa_exception_fp_ieee_invalid_op 0
		.amdhsa_exception_fp_denorm_src 0
		.amdhsa_exception_fp_ieee_div_zero 0
		.amdhsa_exception_fp_ieee_overflow 0
		.amdhsa_exception_fp_ieee_underflow 0
		.amdhsa_exception_fp_ieee_inexact 0
		.amdhsa_exception_int_div_zero 0
	.end_amdhsa_kernel
	.section	.text._ZN9rocsparseL49gtsv_nopivot_strided_batch_pcr_pow2_shared_kernelILj64EfEEviiiPKT0_S3_S3_PS1_,"axG",@progbits,_ZN9rocsparseL49gtsv_nopivot_strided_batch_pcr_pow2_shared_kernelILj64EfEEviiiPKT0_S3_S3_PS1_,comdat
.Lfunc_end5:
	.size	_ZN9rocsparseL49gtsv_nopivot_strided_batch_pcr_pow2_shared_kernelILj64EfEEviiiPKT0_S3_S3_PS1_, .Lfunc_end5-_ZN9rocsparseL49gtsv_nopivot_strided_batch_pcr_pow2_shared_kernelILj64EfEEviiiPKT0_S3_S3_PS1_
                                        ; -- End function
	.section	.AMDGPU.csdata,"",@progbits
; Kernel info:
; codeLenInByte = 2324
; NumSgprs: 18
; NumVgprs: 26
; ScratchSize: 0
; MemoryBound: 0
; FloatMode: 240
; IeeeMode: 1
; LDSByteSize: 1348 bytes/workgroup (compile time only)
; SGPRBlocks: 2
; VGPRBlocks: 3
; NumSGPRsForWavesPerEU: 18
; NumVGPRsForWavesPerEU: 26
; Occupancy: 16
; WaveLimiterHint : 0
; COMPUTE_PGM_RSRC2:SCRATCH_EN: 0
; COMPUTE_PGM_RSRC2:USER_SGPR: 15
; COMPUTE_PGM_RSRC2:TRAP_HANDLER: 0
; COMPUTE_PGM_RSRC2:TGID_X_EN: 1
; COMPUTE_PGM_RSRC2:TGID_Y_EN: 0
; COMPUTE_PGM_RSRC2:TGID_Z_EN: 0
; COMPUTE_PGM_RSRC2:TIDIG_COMP_CNT: 0
	.section	.text._ZN9rocsparseL51gtsv_nopivot_strided_batch_crpcr_pow2_shared_kernelILj64ELj64EfEEviiiPKT1_S3_S3_PS1_,"axG",@progbits,_ZN9rocsparseL51gtsv_nopivot_strided_batch_crpcr_pow2_shared_kernelILj64ELj64EfEEviiiPKT1_S3_S3_PS1_,comdat
	.globl	_ZN9rocsparseL51gtsv_nopivot_strided_batch_crpcr_pow2_shared_kernelILj64ELj64EfEEviiiPKT1_S3_S3_PS1_ ; -- Begin function _ZN9rocsparseL51gtsv_nopivot_strided_batch_crpcr_pow2_shared_kernelILj64ELj64EfEEviiiPKT1_S3_S3_PS1_
	.p2align	8
	.type	_ZN9rocsparseL51gtsv_nopivot_strided_batch_crpcr_pow2_shared_kernelILj64ELj64EfEEviiiPKT1_S3_S3_PS1_,@function
_ZN9rocsparseL51gtsv_nopivot_strided_batch_crpcr_pow2_shared_kernelILj64ELj64EfEEviiiPKT1_S3_S3_PS1_: ; @_ZN9rocsparseL51gtsv_nopivot_strided_batch_crpcr_pow2_shared_kernelILj64ELj64EfEEviiiPKT1_S3_S3_PS1_
; %bb.0:
	s_clause 0x1
	s_load_b32 s8, s[0:1], 0x8
	s_load_b256 s[0:7], s[0:1], 0x10
	s_waitcnt lgkmcnt(0)
	v_mad_u64_u32 v[1:2], null, s15, s8, v[0:1]
	s_delay_alu instid0(VALU_DEP_1) | instskip(SKIP_1) | instid1(VALU_DEP_2)
	v_dual_mov_b32 v4, 0 :: v_dual_add_nc_u32 v3, 64, v1
	v_ashrrev_i32_e32 v2, 31, v1
	v_lshlrev_b64 v[3:4], 2, v[3:4]
	s_delay_alu instid0(VALU_DEP_2) | instskip(NEXT) | instid1(VALU_DEP_1)
	v_lshlrev_b64 v[1:2], 2, v[1:2]
	v_add_co_u32 v5, vcc_lo, s0, v1
	s_delay_alu instid0(VALU_DEP_2) | instskip(NEXT) | instid1(VALU_DEP_4)
	v_add_co_ci_u32_e32 v6, vcc_lo, s1, v2, vcc_lo
	v_add_co_u32 v7, vcc_lo, s0, v3
	v_add_co_ci_u32_e32 v8, vcc_lo, s1, v4, vcc_lo
	v_add_co_u32 v9, vcc_lo, s2, v1
	v_add_co_ci_u32_e32 v10, vcc_lo, s3, v2, vcc_lo
	v_add_co_u32 v11, vcc_lo, s2, v3
	v_add_co_ci_u32_e32 v12, vcc_lo, s3, v4, vcc_lo
	v_add_co_u32 v13, vcc_lo, s4, v1
	v_add_co_ci_u32_e32 v14, vcc_lo, s5, v2, vcc_lo
	v_add_co_u32 v15, vcc_lo, s4, v3
	v_add_co_ci_u32_e32 v16, vcc_lo, s5, v4, vcc_lo
	v_add_co_u32 v1, vcc_lo, s6, v1
	v_add_co_ci_u32_e32 v2, vcc_lo, s7, v2, vcc_lo
	v_add_co_u32 v3, vcc_lo, s6, v3
	v_add_co_ci_u32_e32 v4, vcc_lo, s7, v4, vcc_lo
	s_clause 0x1
	global_load_b32 v17, v[5:6], off
	global_load_b32 v7, v[7:8], off
	s_clause 0x1
	global_load_b32 v8, v[9:10], off
	global_load_b32 v9, v[11:12], off
	;; [unrolled: 3-line block ×4, first 2 shown]
	v_lshlrev_b32_e32 v5, 2, v0
	v_cmp_gt_u32_e64 s0, 64, v0
	v_lshlrev_b32_e32 v6, 1, v0
	s_waitcnt vmcnt(6)
	ds_store_2addr_stride64_b32 v5, v17, v7 offset1:1
	s_waitcnt vmcnt(4)
	ds_store_2addr_stride64_b32 v5, v8, v9 offset0:2 offset1:3
	s_waitcnt vmcnt(2)
	ds_store_2addr_stride64_b32 v5, v10, v11 offset0:4 offset1:5
	;; [unrolled: 2-line block ×3, first 2 shown]
	s_waitcnt lgkmcnt(0)
	s_barrier
	buffer_gl0_inv
	s_and_saveexec_b32 s2, s0
	s_cbranch_execz .LBB6_2
; %bb.1:
	v_or_b32_e32 v7, 0x200, v5
	v_min_u32_e32 v8, 0x7d, v6
	v_or_b32_e32 v9, 0x400, v5
	v_add_nc_u32_e32 v19, v5, v5
	v_or_b32_e32 v15, 0x800, v5
	v_add_nc_u32_e32 v20, v7, v5
	v_lshlrev_b32_e32 v17, 2, v8
	v_add_nc_u32_e32 v21, v9, v5
	ds_load_b64 v[7:8], v19
	ds_load_b64 v[9:10], v20
	ds_load_2addr_b32 v[11:12], v17 offset0:2 offset1:130
	ds_load_b64 v[13:14], v21
	v_add_nc_u32_e32 v17, 8, v17
	s_waitcnt lgkmcnt(2)
	v_div_scale_f32 v18, null, v9, v9, v8
	s_waitcnt lgkmcnt(0)
	v_div_scale_f32 v23, null, v12, v12, v14
	v_div_scale_f32 v28, vcc_lo, v8, v9, v8
	s_delay_alu instid0(VALU_DEP_3) | instskip(NEXT) | instid1(VALU_DEP_2)
	v_rcp_f32_e32 v24, v18
	v_rcp_f32_e32 v25, v23
	s_waitcnt_depctr 0xfff
	v_fma_f32 v26, -v18, v24, 1.0
	v_fma_f32 v27, -v23, v25, 1.0
	s_delay_alu instid0(VALU_DEP_2) | instskip(SKIP_1) | instid1(VALU_DEP_3)
	v_fmac_f32_e32 v24, v26, v24
	v_div_scale_f32 v26, s1, v14, v12, v14
	v_fmac_f32_e32 v25, v27, v25
	s_delay_alu instid0(VALU_DEP_3) | instskip(NEXT) | instid1(VALU_DEP_2)
	v_mul_f32_e32 v27, v28, v24
	v_mul_f32_e32 v29, v26, v25
	s_delay_alu instid0(VALU_DEP_2) | instskip(SKIP_1) | instid1(VALU_DEP_3)
	v_fma_f32 v30, -v18, v27, v28
	v_add_nc_u32_e32 v22, v15, v5
	v_fma_f32 v31, -v23, v29, v26
	s_delay_alu instid0(VALU_DEP_3)
	v_fmac_f32_e32 v27, v30, v24
	ds_load_b64 v[15:16], v22
	v_fmac_f32_e32 v29, v31, v25
	v_fma_f32 v28, -v18, v27, v28
	ds_load_2addr_stride64_b32 v[17:18], v17 offset0:4 offset1:8
	v_fma_f32 v23, -v23, v29, v26
	v_div_fmas_f32 v24, v28, v24, v27
	s_mov_b32 vcc_lo, s1
	s_delay_alu instid0(VALU_DEP_2) | instskip(NEXT) | instid1(VALU_DEP_2)
	v_div_fmas_f32 v23, v23, v25, v29
	v_div_fixup_f32 v8, v24, v9, v8
	s_delay_alu instid0(VALU_DEP_2) | instskip(NEXT) | instid1(VALU_DEP_2)
	v_div_fixup_f32 v9, v23, v12, v14
	v_fma_f32 v10, -v8, v13, v10
	s_waitcnt lgkmcnt(1)
	v_fma_f32 v12, -v8, v15, v16
	v_mul_f32_e64 v7, v8, -v7
	s_delay_alu instid0(VALU_DEP_3) | instskip(SKIP_1) | instid1(VALU_DEP_3)
	v_fma_f32 v10, -v9, v11, v10
	s_waitcnt lgkmcnt(0)
	v_fma_f32 v8, -v9, v18, v12
	v_mul_f32_e64 v9, v9, -v17
	ds_store_b32 v20, v10 offset:4
	ds_store_b32 v19, v7 offset:4
	;; [unrolled: 1-line block ×4, first 2 shown]
.LBB6_2:
	s_or_b32 exec_lo, exec_lo, s2
	v_lshlrev_b32_e32 v7, 3, v0
	s_waitcnt lgkmcnt(0)
	s_barrier
	buffer_gl0_inv
	s_and_saveexec_b32 s1, s0
	s_cbranch_execz .LBB6_4
; %bb.3:
	v_add_nc_u32_e32 v10, 4, v7
	ds_load_2addr_b32 v[8:9], v7 offset0:1 offset1:129
	ds_load_2addr_stride64_b32 v[10:11], v10 offset0:4 offset1:8
	s_waitcnt lgkmcnt(1)
	ds_store_2addr_stride64_b32 v5, v8, v9 offset0:10 offset1:11
	s_waitcnt lgkmcnt(1)
	ds_store_2addr_stride64_b32 v5, v10, v11 offset0:12 offset1:14
.LBB6_4:
	s_or_b32 exec_lo, exec_lo, s1
	v_or_b32_e32 v9, 0xa00, v5
	v_or_b32_e32 v11, 0xc00, v5
	;; [unrolled: 1-line block ×4, first 2 shown]
	s_waitcnt lgkmcnt(0)
	s_barrier
	buffer_gl0_inv
                                        ; implicit-def: $vgpr14
                                        ; implicit-def: $vgpr15
                                        ; implicit-def: $vgpr13
                                        ; implicit-def: $vgpr12
	s_and_saveexec_b32 s2, s0
	s_cbranch_execz .LBB6_6
; %bb.5:
	v_max_u32_e32 v12, 1, v0
	v_min_u32_e32 v13, 62, v0
	s_delay_alu instid0(VALU_DEP_2) | instskip(NEXT) | instid1(VALU_DEP_2)
	v_lshlrev_b32_e32 v12, 2, v12
	v_lshlrev_b32_e32 v13, 2, v13
	s_delay_alu instid0(VALU_DEP_2) | instskip(NEXT) | instid1(VALU_DEP_2)
	v_add_nc_u32_e32 v16, 0xfc, v12
	v_add_nc_u32_e32 v18, 4, v13
	ds_load_2addr_stride64_b32 v[12:13], v16 offset0:9 offset1:10
	ds_load_b32 v20, v9
	ds_load_2addr_stride64_b32 v[14:15], v18 offset0:10 offset1:11
	ds_load_b32 v21, v11
	ds_load_b32 v22, v10
	;; [unrolled: 1-line block ×3, first 2 shown]
	s_waitcnt lgkmcnt(4)
	v_div_scale_f32 v19, null, v13, v13, v20
	s_waitcnt lgkmcnt(2)
	v_div_scale_f32 v24, null, v15, v15, v21
	v_div_scale_f32 v28, vcc_lo, v20, v13, v20
	s_delay_alu instid0(VALU_DEP_3) | instskip(NEXT) | instid1(VALU_DEP_2)
	v_rcp_f32_e32 v25, v19
	v_rcp_f32_e32 v26, v24
	v_div_scale_f32 v29, s1, v21, v15, v21
	s_waitcnt_depctr 0xfff
	v_fma_f32 v17, -v19, v25, 1.0
	v_fma_f32 v27, -v24, v26, 1.0
	s_delay_alu instid0(VALU_DEP_1) | instskip(NEXT) | instid1(VALU_DEP_1)
	v_dual_fmac_f32 v25, v17, v25 :: v_dual_fmac_f32 v26, v27, v26
	v_mul_f32_e32 v27, v28, v25
	ds_load_2addr_stride64_b32 v[16:17], v16 offset0:11 offset1:13
	v_fma_f32 v31, -v19, v27, v28
	s_delay_alu instid0(VALU_DEP_1) | instskip(NEXT) | instid1(VALU_DEP_1)
	v_dual_mul_f32 v30, v29, v26 :: v_dual_fmac_f32 v27, v31, v25
	v_fma_f32 v32, -v24, v30, v29
	s_delay_alu instid0(VALU_DEP_2) | instskip(NEXT) | instid1(VALU_DEP_2)
	v_fma_f32 v28, -v19, v27, v28
	v_fmac_f32_e32 v30, v32, v26
	ds_load_2addr_stride64_b32 v[18:19], v18 offset0:12 offset1:14
	v_div_fmas_f32 v25, v28, v25, v27
	v_fma_f32 v24, -v24, v30, v29
	s_mov_b32 vcc_lo, s1
	s_delay_alu instid0(VALU_DEP_2) | instskip(NEXT) | instid1(VALU_DEP_2)
	v_div_fixup_f32 v13, v25, v13, v20
	v_div_fmas_f32 v24, v24, v26, v30
	s_waitcnt lgkmcnt(1)
	s_delay_alu instid0(VALU_DEP_2) | instskip(NEXT) | instid1(VALU_DEP_2)
	v_fma_f32 v16, -v13, v16, v22
	v_div_fixup_f32 v15, v24, v15, v21
	v_fma_f32 v17, -v13, v17, v23
	v_mul_f32_e64 v12, v13, -v12
	s_delay_alu instid0(VALU_DEP_3) | instskip(SKIP_1) | instid1(VALU_DEP_3)
	v_fma_f32 v13, -v15, v14, v16
	s_waitcnt lgkmcnt(0)
	v_fma_f32 v14, -v15, v19, v17
	v_mul_f32_e64 v15, v15, -v18
.LBB6_6:
	s_or_b32 exec_lo, exec_lo, s2
	s_barrier
	buffer_gl0_inv
	s_and_saveexec_b32 s1, s0
	s_cbranch_execz .LBB6_8
; %bb.7:
	ds_store_b32 v8, v14
	ds_store_b32 v9, v12
	;; [unrolled: 1-line block ×4, first 2 shown]
.LBB6_8:
	s_or_b32 exec_lo, exec_lo, s1
	s_waitcnt lgkmcnt(0)
	s_barrier
	buffer_gl0_inv
	s_and_saveexec_b32 s2, s0
	s_cbranch_execz .LBB6_10
; %bb.9:
	v_max_u32_e32 v12, 2, v0
	v_min_u32_e32 v13, 61, v0
	s_delay_alu instid0(VALU_DEP_2) | instskip(NEXT) | instid1(VALU_DEP_2)
	v_lshlrev_b32_e32 v12, 2, v12
	v_lshlrev_b32_e32 v13, 2, v13
	s_delay_alu instid0(VALU_DEP_2) | instskip(NEXT) | instid1(VALU_DEP_2)
	v_add_nc_u32_e32 v16, 0xf8, v12
	v_add_nc_u32_e32 v18, 8, v13
	ds_load_2addr_stride64_b32 v[12:13], v16 offset0:9 offset1:10
	ds_load_b32 v20, v9
	ds_load_2addr_stride64_b32 v[14:15], v18 offset0:10 offset1:11
	ds_load_b32 v21, v11
	ds_load_b32 v22, v10
	;; [unrolled: 1-line block ×3, first 2 shown]
	s_waitcnt lgkmcnt(4)
	v_div_scale_f32 v19, null, v13, v13, v20
	s_waitcnt lgkmcnt(2)
	v_div_scale_f32 v24, null, v15, v15, v21
	v_div_scale_f32 v28, vcc_lo, v20, v13, v20
	s_delay_alu instid0(VALU_DEP_3) | instskip(NEXT) | instid1(VALU_DEP_2)
	v_rcp_f32_e32 v25, v19
	v_rcp_f32_e32 v26, v24
	v_div_scale_f32 v29, s1, v21, v15, v21
	s_waitcnt_depctr 0xfff
	v_fma_f32 v17, -v19, v25, 1.0
	v_fma_f32 v27, -v24, v26, 1.0
	s_delay_alu instid0(VALU_DEP_1) | instskip(NEXT) | instid1(VALU_DEP_1)
	v_dual_fmac_f32 v25, v17, v25 :: v_dual_fmac_f32 v26, v27, v26
	v_mul_f32_e32 v27, v28, v25
	ds_load_2addr_stride64_b32 v[16:17], v16 offset0:11 offset1:13
	v_fma_f32 v31, -v19, v27, v28
	s_delay_alu instid0(VALU_DEP_1) | instskip(NEXT) | instid1(VALU_DEP_1)
	v_dual_mul_f32 v30, v29, v26 :: v_dual_fmac_f32 v27, v31, v25
	v_fma_f32 v32, -v24, v30, v29
	s_delay_alu instid0(VALU_DEP_2) | instskip(NEXT) | instid1(VALU_DEP_2)
	v_fma_f32 v28, -v19, v27, v28
	v_fmac_f32_e32 v30, v32, v26
	ds_load_2addr_stride64_b32 v[18:19], v18 offset0:12 offset1:14
	v_div_fmas_f32 v25, v28, v25, v27
	v_fma_f32 v24, -v24, v30, v29
	s_mov_b32 vcc_lo, s1
	s_delay_alu instid0(VALU_DEP_2) | instskip(NEXT) | instid1(VALU_DEP_2)
	v_div_fixup_f32 v13, v25, v13, v20
	v_div_fmas_f32 v24, v24, v26, v30
	s_waitcnt lgkmcnt(1)
	s_delay_alu instid0(VALU_DEP_2) | instskip(NEXT) | instid1(VALU_DEP_2)
	v_fma_f32 v16, -v13, v16, v22
	v_div_fixup_f32 v15, v24, v15, v21
	v_fma_f32 v17, -v13, v17, v23
	v_mul_f32_e64 v12, v13, -v12
	s_delay_alu instid0(VALU_DEP_3) | instskip(SKIP_1) | instid1(VALU_DEP_3)
	v_fma_f32 v13, -v15, v14, v16
	s_waitcnt lgkmcnt(0)
	v_fma_f32 v14, -v15, v19, v17
	v_mul_f32_e64 v15, v15, -v18
.LBB6_10:
	s_or_b32 exec_lo, exec_lo, s2
	s_barrier
	buffer_gl0_inv
	s_and_saveexec_b32 s1, s0
	s_cbranch_execz .LBB6_12
; %bb.11:
	ds_store_b32 v8, v14
	ds_store_b32 v9, v12
	ds_store_b32 v10, v13
	ds_store_b32 v11, v15
.LBB6_12:
	s_or_b32 exec_lo, exec_lo, s1
	s_waitcnt lgkmcnt(0)
	s_barrier
	buffer_gl0_inv
	s_and_saveexec_b32 s2, s0
	s_cbranch_execz .LBB6_14
; %bb.13:
	v_max_u32_e32 v12, 4, v0
	v_min_u32_e32 v13, 59, v0
	s_delay_alu instid0(VALU_DEP_2) | instskip(NEXT) | instid1(VALU_DEP_2)
	v_lshlrev_b32_e32 v12, 2, v12
	v_lshlrev_b32_e32 v13, 2, v13
	s_delay_alu instid0(VALU_DEP_2) | instskip(NEXT) | instid1(VALU_DEP_2)
	v_add_nc_u32_e32 v16, 0xf0, v12
	v_add_nc_u32_e32 v18, 16, v13
	ds_load_2addr_stride64_b32 v[12:13], v16 offset0:9 offset1:10
	ds_load_b32 v20, v9
	ds_load_2addr_stride64_b32 v[14:15], v18 offset0:10 offset1:11
	ds_load_b32 v21, v11
	ds_load_b32 v22, v10
	;; [unrolled: 1-line block ×3, first 2 shown]
	s_waitcnt lgkmcnt(4)
	v_div_scale_f32 v19, null, v13, v13, v20
	s_waitcnt lgkmcnt(2)
	v_div_scale_f32 v24, null, v15, v15, v21
	v_div_scale_f32 v28, vcc_lo, v20, v13, v20
	s_delay_alu instid0(VALU_DEP_3) | instskip(NEXT) | instid1(VALU_DEP_2)
	v_rcp_f32_e32 v25, v19
	v_rcp_f32_e32 v26, v24
	v_div_scale_f32 v29, s1, v21, v15, v21
	s_waitcnt_depctr 0xfff
	v_fma_f32 v17, -v19, v25, 1.0
	v_fma_f32 v27, -v24, v26, 1.0
	s_delay_alu instid0(VALU_DEP_1) | instskip(NEXT) | instid1(VALU_DEP_1)
	v_dual_fmac_f32 v25, v17, v25 :: v_dual_fmac_f32 v26, v27, v26
	v_mul_f32_e32 v27, v28, v25
	ds_load_2addr_stride64_b32 v[16:17], v16 offset0:11 offset1:13
	v_fma_f32 v31, -v19, v27, v28
	s_delay_alu instid0(VALU_DEP_1) | instskip(NEXT) | instid1(VALU_DEP_1)
	v_dual_mul_f32 v30, v29, v26 :: v_dual_fmac_f32 v27, v31, v25
	v_fma_f32 v32, -v24, v30, v29
	s_delay_alu instid0(VALU_DEP_2) | instskip(NEXT) | instid1(VALU_DEP_2)
	v_fma_f32 v28, -v19, v27, v28
	v_fmac_f32_e32 v30, v32, v26
	ds_load_2addr_stride64_b32 v[18:19], v18 offset0:12 offset1:14
	v_div_fmas_f32 v25, v28, v25, v27
	v_fma_f32 v24, -v24, v30, v29
	s_mov_b32 vcc_lo, s1
	s_delay_alu instid0(VALU_DEP_2) | instskip(NEXT) | instid1(VALU_DEP_2)
	v_div_fixup_f32 v13, v25, v13, v20
	v_div_fmas_f32 v24, v24, v26, v30
	s_waitcnt lgkmcnt(1)
	s_delay_alu instid0(VALU_DEP_2) | instskip(NEXT) | instid1(VALU_DEP_2)
	v_fma_f32 v16, -v13, v16, v22
	v_div_fixup_f32 v15, v24, v15, v21
	v_fma_f32 v17, -v13, v17, v23
	v_mul_f32_e64 v12, v13, -v12
	s_delay_alu instid0(VALU_DEP_3) | instskip(SKIP_1) | instid1(VALU_DEP_3)
	v_fma_f32 v13, -v15, v14, v16
	s_waitcnt lgkmcnt(0)
	v_fma_f32 v14, -v15, v19, v17
	v_mul_f32_e64 v15, v15, -v18
.LBB6_14:
	s_or_b32 exec_lo, exec_lo, s2
	s_barrier
	buffer_gl0_inv
	s_and_saveexec_b32 s1, s0
	s_cbranch_execz .LBB6_16
; %bb.15:
	ds_store_b32 v8, v14
	ds_store_b32 v9, v12
	ds_store_b32 v10, v13
	ds_store_b32 v11, v15
.LBB6_16:
	s_or_b32 exec_lo, exec_lo, s1
	s_waitcnt lgkmcnt(0)
	s_barrier
	buffer_gl0_inv
	s_and_saveexec_b32 s2, s0
	s_cbranch_execz .LBB6_18
; %bb.17:
	v_max_u32_e32 v12, 8, v0
	v_min_u32_e32 v13, 55, v0
	s_delay_alu instid0(VALU_DEP_2) | instskip(NEXT) | instid1(VALU_DEP_2)
	v_lshlrev_b32_e32 v12, 2, v12
	v_lshlrev_b32_e32 v13, 2, v13
	s_delay_alu instid0(VALU_DEP_2) | instskip(NEXT) | instid1(VALU_DEP_2)
	v_add_nc_u32_e32 v16, 0xe0, v12
	v_add_nc_u32_e32 v18, 32, v13
	ds_load_2addr_stride64_b32 v[12:13], v16 offset0:9 offset1:10
	ds_load_b32 v20, v9
	ds_load_2addr_stride64_b32 v[14:15], v18 offset0:10 offset1:11
	ds_load_b32 v21, v11
	ds_load_b32 v22, v10
	;; [unrolled: 1-line block ×3, first 2 shown]
	s_waitcnt lgkmcnt(4)
	v_div_scale_f32 v19, null, v13, v13, v20
	s_waitcnt lgkmcnt(2)
	v_div_scale_f32 v24, null, v15, v15, v21
	v_div_scale_f32 v28, vcc_lo, v20, v13, v20
	s_delay_alu instid0(VALU_DEP_3) | instskip(NEXT) | instid1(VALU_DEP_2)
	v_rcp_f32_e32 v25, v19
	v_rcp_f32_e32 v26, v24
	v_div_scale_f32 v29, s1, v21, v15, v21
	s_waitcnt_depctr 0xfff
	v_fma_f32 v17, -v19, v25, 1.0
	v_fma_f32 v27, -v24, v26, 1.0
	s_delay_alu instid0(VALU_DEP_1) | instskip(NEXT) | instid1(VALU_DEP_1)
	v_dual_fmac_f32 v25, v17, v25 :: v_dual_fmac_f32 v26, v27, v26
	v_mul_f32_e32 v27, v28, v25
	ds_load_2addr_stride64_b32 v[16:17], v16 offset0:11 offset1:13
	v_fma_f32 v31, -v19, v27, v28
	s_delay_alu instid0(VALU_DEP_1) | instskip(NEXT) | instid1(VALU_DEP_1)
	v_dual_mul_f32 v30, v29, v26 :: v_dual_fmac_f32 v27, v31, v25
	v_fma_f32 v32, -v24, v30, v29
	s_delay_alu instid0(VALU_DEP_2) | instskip(NEXT) | instid1(VALU_DEP_2)
	v_fma_f32 v28, -v19, v27, v28
	v_fmac_f32_e32 v30, v32, v26
	ds_load_2addr_stride64_b32 v[18:19], v18 offset0:12 offset1:14
	v_div_fmas_f32 v25, v28, v25, v27
	v_fma_f32 v24, -v24, v30, v29
	s_mov_b32 vcc_lo, s1
	s_delay_alu instid0(VALU_DEP_2) | instskip(NEXT) | instid1(VALU_DEP_2)
	v_div_fixup_f32 v13, v25, v13, v20
	v_div_fmas_f32 v24, v24, v26, v30
	s_waitcnt lgkmcnt(1)
	s_delay_alu instid0(VALU_DEP_2) | instskip(NEXT) | instid1(VALU_DEP_2)
	v_fma_f32 v16, -v13, v16, v22
	v_div_fixup_f32 v15, v24, v15, v21
	v_fma_f32 v17, -v13, v17, v23
	v_mul_f32_e64 v12, v13, -v12
	s_delay_alu instid0(VALU_DEP_3) | instskip(SKIP_1) | instid1(VALU_DEP_3)
	v_fma_f32 v13, -v15, v14, v16
	s_waitcnt lgkmcnt(0)
	v_fma_f32 v14, -v15, v19, v17
	v_mul_f32_e64 v15, v15, -v18
.LBB6_18:
	s_or_b32 exec_lo, exec_lo, s2
	s_barrier
	buffer_gl0_inv
	s_and_saveexec_b32 s1, s0
	s_cbranch_execz .LBB6_20
; %bb.19:
	ds_store_b32 v8, v14
	ds_store_b32 v9, v12
	;; [unrolled: 1-line block ×4, first 2 shown]
.LBB6_20:
	s_or_b32 exec_lo, exec_lo, s1
	s_waitcnt lgkmcnt(0)
	s_barrier
	buffer_gl0_inv
	s_and_saveexec_b32 s2, s0
	s_cbranch_execz .LBB6_22
; %bb.21:
	v_max_u32_e32 v12, 16, v0
	v_min_u32_e32 v13, 47, v0
	s_delay_alu instid0(VALU_DEP_2) | instskip(NEXT) | instid1(VALU_DEP_2)
	v_lshlrev_b32_e32 v12, 2, v12
	v_lshlrev_b32_e32 v13, 2, v13
	s_delay_alu instid0(VALU_DEP_2) | instskip(NEXT) | instid1(VALU_DEP_2)
	v_add_nc_u32_e32 v16, 0xc0, v12
	v_add_nc_u32_e32 v18, 64, v13
	ds_load_2addr_stride64_b32 v[12:13], v16 offset0:9 offset1:10
	ds_load_b32 v20, v9
	ds_load_2addr_stride64_b32 v[14:15], v18 offset0:10 offset1:11
	ds_load_b32 v21, v11
	ds_load_b32 v22, v10
	;; [unrolled: 1-line block ×3, first 2 shown]
	s_waitcnt lgkmcnt(4)
	v_div_scale_f32 v19, null, v13, v13, v20
	s_waitcnt lgkmcnt(2)
	v_div_scale_f32 v24, null, v15, v15, v21
	v_div_scale_f32 v28, vcc_lo, v20, v13, v20
	s_delay_alu instid0(VALU_DEP_3) | instskip(NEXT) | instid1(VALU_DEP_2)
	v_rcp_f32_e32 v25, v19
	v_rcp_f32_e32 v26, v24
	v_div_scale_f32 v29, s1, v21, v15, v21
	s_waitcnt_depctr 0xfff
	v_fma_f32 v17, -v19, v25, 1.0
	v_fma_f32 v27, -v24, v26, 1.0
	s_delay_alu instid0(VALU_DEP_1) | instskip(NEXT) | instid1(VALU_DEP_1)
	v_dual_fmac_f32 v25, v17, v25 :: v_dual_fmac_f32 v26, v27, v26
	v_mul_f32_e32 v27, v28, v25
	ds_load_2addr_stride64_b32 v[16:17], v16 offset0:11 offset1:13
	v_fma_f32 v31, -v19, v27, v28
	s_delay_alu instid0(VALU_DEP_1) | instskip(NEXT) | instid1(VALU_DEP_1)
	v_dual_mul_f32 v30, v29, v26 :: v_dual_fmac_f32 v27, v31, v25
	v_fma_f32 v32, -v24, v30, v29
	s_delay_alu instid0(VALU_DEP_2) | instskip(NEXT) | instid1(VALU_DEP_2)
	v_fma_f32 v28, -v19, v27, v28
	v_fmac_f32_e32 v30, v32, v26
	ds_load_2addr_stride64_b32 v[18:19], v18 offset0:12 offset1:14
	v_div_fmas_f32 v25, v28, v25, v27
	v_fma_f32 v24, -v24, v30, v29
	s_mov_b32 vcc_lo, s1
	s_delay_alu instid0(VALU_DEP_2) | instskip(NEXT) | instid1(VALU_DEP_2)
	v_div_fixup_f32 v13, v25, v13, v20
	v_div_fmas_f32 v24, v24, v26, v30
	s_waitcnt lgkmcnt(1)
	s_delay_alu instid0(VALU_DEP_2) | instskip(NEXT) | instid1(VALU_DEP_2)
	v_fma_f32 v16, -v13, v16, v22
	v_div_fixup_f32 v15, v24, v15, v21
	v_fma_f32 v17, -v13, v17, v23
	v_mul_f32_e64 v12, v13, -v12
	s_delay_alu instid0(VALU_DEP_3) | instskip(SKIP_1) | instid1(VALU_DEP_3)
	v_fma_f32 v13, -v15, v14, v16
	s_waitcnt lgkmcnt(0)
	v_fma_f32 v14, -v15, v19, v17
	v_mul_f32_e64 v15, v15, -v18
.LBB6_22:
	s_or_b32 exec_lo, exec_lo, s2
	s_barrier
	buffer_gl0_inv
	s_and_saveexec_b32 s1, s0
	s_cbranch_execz .LBB6_24
; %bb.23:
	ds_store_b32 v8, v14
	ds_store_b32 v9, v12
	;; [unrolled: 1-line block ×4, first 2 shown]
.LBB6_24:
	s_or_b32 exec_lo, exec_lo, s1
	s_delay_alu instid0(SALU_CYCLE_1)
	s_mov_b32 s1, exec_lo
	s_waitcnt lgkmcnt(0)
	s_barrier
	buffer_gl0_inv
	v_cmpx_gt_u32_e32 32, v0
	s_cbranch_execz .LBB6_26
; %bb.25:
	ds_load_b32 v13, v11
	ds_load_b32 v14, v9 offset:128
	ds_load_2addr_b32 v[9:10], v10 offset1:32
	s_waitcnt lgkmcnt(1)
	v_mul_f32_e32 v11, v13, v14
	s_waitcnt lgkmcnt(0)
	s_delay_alu instid0(VALU_DEP_1) | instskip(NEXT) | instid1(VALU_DEP_1)
	v_fma_f32 v15, v10, v9, -v11
	v_div_scale_f32 v16, null, v15, v15, 1.0
	v_div_scale_f32 v18, vcc_lo, 1.0, v15, 1.0
	s_delay_alu instid0(VALU_DEP_2) | instskip(SKIP_2) | instid1(VALU_DEP_1)
	v_rcp_f32_e32 v17, v16
	s_waitcnt_depctr 0xfff
	v_fma_f32 v11, -v16, v17, 1.0
	v_fmac_f32_e32 v17, v11, v17
	ds_load_2addr_b32 v[11:12], v8 offset1:32
	s_waitcnt lgkmcnt(0)
	v_mul_f32_e32 v14, v14, v11
	v_dual_mul_f32 v8, v18, v17 :: v_dual_mul_f32 v13, v13, v12
	s_delay_alu instid0(VALU_DEP_2) | instskip(NEXT) | instid1(VALU_DEP_2)
	v_fma_f32 v9, v9, v12, -v14
	v_fma_f32 v19, -v16, v8, v18
	s_delay_alu instid0(VALU_DEP_3) | instskip(NEXT) | instid1(VALU_DEP_2)
	v_fma_f32 v10, v10, v11, -v13
	v_fmac_f32_e32 v8, v19, v17
	s_delay_alu instid0(VALU_DEP_1) | instskip(NEXT) | instid1(VALU_DEP_1)
	v_fma_f32 v16, -v16, v8, v18
	v_div_fmas_f32 v8, v16, v17, v8
	s_delay_alu instid0(VALU_DEP_1) | instskip(NEXT) | instid1(VALU_DEP_1)
	v_div_fixup_f32 v8, v8, v15, 1.0
	v_mul_f32_e32 v10, v8, v10
	v_mul_f32_e32 v8, v8, v9
	v_add_nc_u32_e32 v9, 0xc00, v5
	ds_store_2addr_b32 v9, v10, v8 offset0:64 offset1:96
.LBB6_26:
	s_or_b32 exec_lo, exec_lo, s1
	s_waitcnt lgkmcnt(0)
	s_barrier
	buffer_gl0_inv
	s_and_saveexec_b32 s1, s0
	s_cbranch_execz .LBB6_28
; %bb.27:
	ds_load_b32 v8, v5 offset:3328
	s_waitcnt lgkmcnt(0)
	ds_store_b32 v7, v8 offset:1540
.LBB6_28:
	s_or_b32 exec_lo, exec_lo, s1
	s_waitcnt lgkmcnt(0)
	s_barrier
	buffer_gl0_inv
	s_and_saveexec_b32 s1, s0
	s_cbranch_execz .LBB6_34
; %bb.29:
	v_cmp_ne_u32_e32 vcc_lo, 0, v0
	v_lshlrev_b32_e32 v0, 2, v6
                                        ; implicit-def: $vgpr6
	s_and_saveexec_b32 s0, vcc_lo
	s_delay_alu instid0(SALU_CYCLE_1)
	s_xor_b32 s0, exec_lo, s0
	s_cbranch_execz .LBB6_31
; %bb.30:
	s_delay_alu instid0(VALU_DEP_1)
	v_add_nc_u32_e32 v6, 0x500, v0
	ds_load_2addr_b32 v[6:7], v6 offset0:63 offset1:192
	ds_load_b32 v8, v0
	s_waitcnt lgkmcnt(0)
	v_fma_f32 v6, -v8, v6, v7
.LBB6_31:
	s_and_not1_saveexec_b32 s0, s0
	s_cbranch_execz .LBB6_33
; %bb.32:
	ds_load_b32 v6, v0 offset:2048
.LBB6_33:
	s_or_b32 exec_lo, exec_lo, s0
	ds_load_2addr_stride64_b32 v[7:8], v0 offset0:2 offset1:4
	ds_load_b32 v9, v0 offset:1540
	s_waitcnt lgkmcnt(0)
	v_fma_f32 v6, -v8, v9, v6
	s_delay_alu instid0(VALU_DEP_1) | instskip(NEXT) | instid1(VALU_DEP_1)
	v_div_scale_f32 v8, null, v7, v7, v6
	v_rcp_f32_e32 v9, v8
	s_waitcnt_depctr 0xfff
	v_fma_f32 v10, -v8, v9, 1.0
	s_delay_alu instid0(VALU_DEP_1) | instskip(SKIP_1) | instid1(VALU_DEP_1)
	v_fmac_f32_e32 v9, v10, v9
	v_div_scale_f32 v10, vcc_lo, v6, v7, v6
	v_mul_f32_e32 v11, v10, v9
	s_delay_alu instid0(VALU_DEP_1) | instskip(NEXT) | instid1(VALU_DEP_1)
	v_fma_f32 v12, -v8, v11, v10
	v_fmac_f32_e32 v11, v12, v9
	s_delay_alu instid0(VALU_DEP_1) | instskip(NEXT) | instid1(VALU_DEP_1)
	v_fma_f32 v8, -v8, v11, v10
	v_div_fmas_f32 v8, v8, v9, v11
	s_delay_alu instid0(VALU_DEP_1)
	v_div_fixup_f32 v6, v8, v7, v6
	ds_store_b32 v0, v6 offset:1536
.LBB6_34:
	s_or_b32 exec_lo, exec_lo, s1
	s_waitcnt lgkmcnt(0)
	s_barrier
	buffer_gl0_inv
	ds_load_2addr_stride64_b32 v[5:6], v5 offset0:6 offset1:7
	s_waitcnt lgkmcnt(0)
	s_clause 0x1
	global_store_b32 v[1:2], v5, off
	global_store_b32 v[3:4], v6, off
	s_nop 0
	s_sendmsg sendmsg(MSG_DEALLOC_VGPRS)
	s_endpgm
	.section	.rodata,"a",@progbits
	.p2align	6, 0x0
	.amdhsa_kernel _ZN9rocsparseL51gtsv_nopivot_strided_batch_crpcr_pow2_shared_kernelILj64ELj64EfEEviiiPKT1_S3_S3_PS1_
		.amdhsa_group_segment_fixed_size 3840
		.amdhsa_private_segment_fixed_size 0
		.amdhsa_kernarg_size 48
		.amdhsa_user_sgpr_count 15
		.amdhsa_user_sgpr_dispatch_ptr 0
		.amdhsa_user_sgpr_queue_ptr 0
		.amdhsa_user_sgpr_kernarg_segment_ptr 1
		.amdhsa_user_sgpr_dispatch_id 0
		.amdhsa_user_sgpr_private_segment_size 0
		.amdhsa_wavefront_size32 1
		.amdhsa_uses_dynamic_stack 0
		.amdhsa_enable_private_segment 0
		.amdhsa_system_sgpr_workgroup_id_x 1
		.amdhsa_system_sgpr_workgroup_id_y 0
		.amdhsa_system_sgpr_workgroup_id_z 0
		.amdhsa_system_sgpr_workgroup_info 0
		.amdhsa_system_vgpr_workitem_id 0
		.amdhsa_next_free_vgpr 33
		.amdhsa_next_free_sgpr 16
		.amdhsa_reserve_vcc 1
		.amdhsa_float_round_mode_32 0
		.amdhsa_float_round_mode_16_64 0
		.amdhsa_float_denorm_mode_32 3
		.amdhsa_float_denorm_mode_16_64 3
		.amdhsa_dx10_clamp 1
		.amdhsa_ieee_mode 1
		.amdhsa_fp16_overflow 0
		.amdhsa_workgroup_processor_mode 1
		.amdhsa_memory_ordered 1
		.amdhsa_forward_progress 0
		.amdhsa_shared_vgpr_count 0
		.amdhsa_exception_fp_ieee_invalid_op 0
		.amdhsa_exception_fp_denorm_src 0
		.amdhsa_exception_fp_ieee_div_zero 0
		.amdhsa_exception_fp_ieee_overflow 0
		.amdhsa_exception_fp_ieee_underflow 0
		.amdhsa_exception_fp_ieee_inexact 0
		.amdhsa_exception_int_div_zero 0
	.end_amdhsa_kernel
	.section	.text._ZN9rocsparseL51gtsv_nopivot_strided_batch_crpcr_pow2_shared_kernelILj64ELj64EfEEviiiPKT1_S3_S3_PS1_,"axG",@progbits,_ZN9rocsparseL51gtsv_nopivot_strided_batch_crpcr_pow2_shared_kernelILj64ELj64EfEEviiiPKT1_S3_S3_PS1_,comdat
.Lfunc_end6:
	.size	_ZN9rocsparseL51gtsv_nopivot_strided_batch_crpcr_pow2_shared_kernelILj64ELj64EfEEviiiPKT1_S3_S3_PS1_, .Lfunc_end6-_ZN9rocsparseL51gtsv_nopivot_strided_batch_crpcr_pow2_shared_kernelILj64ELj64EfEEviiiPKT1_S3_S3_PS1_
                                        ; -- End function
	.section	.AMDGPU.csdata,"",@progbits
; Kernel info:
; codeLenInByte = 3564
; NumSgprs: 18
; NumVgprs: 33
; ScratchSize: 0
; MemoryBound: 0
; FloatMode: 240
; IeeeMode: 1
; LDSByteSize: 3840 bytes/workgroup (compile time only)
; SGPRBlocks: 2
; VGPRBlocks: 4
; NumSGPRsForWavesPerEU: 18
; NumVGPRsForWavesPerEU: 33
; Occupancy: 16
; WaveLimiterHint : 0
; COMPUTE_PGM_RSRC2:SCRATCH_EN: 0
; COMPUTE_PGM_RSRC2:USER_SGPR: 15
; COMPUTE_PGM_RSRC2:TRAP_HANDLER: 0
; COMPUTE_PGM_RSRC2:TGID_X_EN: 1
; COMPUTE_PGM_RSRC2:TGID_Y_EN: 0
; COMPUTE_PGM_RSRC2:TGID_Z_EN: 0
; COMPUTE_PGM_RSRC2:TIDIG_COMP_CNT: 0
	.section	.text._ZN9rocsparseL51gtsv_nopivot_strided_batch_crpcr_pow2_shared_kernelILj128ELj64EfEEviiiPKT1_S3_S3_PS1_,"axG",@progbits,_ZN9rocsparseL51gtsv_nopivot_strided_batch_crpcr_pow2_shared_kernelILj128ELj64EfEEviiiPKT1_S3_S3_PS1_,comdat
	.globl	_ZN9rocsparseL51gtsv_nopivot_strided_batch_crpcr_pow2_shared_kernelILj128ELj64EfEEviiiPKT1_S3_S3_PS1_ ; -- Begin function _ZN9rocsparseL51gtsv_nopivot_strided_batch_crpcr_pow2_shared_kernelILj128ELj64EfEEviiiPKT1_S3_S3_PS1_
	.p2align	8
	.type	_ZN9rocsparseL51gtsv_nopivot_strided_batch_crpcr_pow2_shared_kernelILj128ELj64EfEEviiiPKT1_S3_S3_PS1_,@function
_ZN9rocsparseL51gtsv_nopivot_strided_batch_crpcr_pow2_shared_kernelILj128ELj64EfEEviiiPKT1_S3_S3_PS1_: ; @_ZN9rocsparseL51gtsv_nopivot_strided_batch_crpcr_pow2_shared_kernelILj128ELj64EfEEviiiPKT1_S3_S3_PS1_
; %bb.0:
	s_clause 0x1
	s_load_b32 s8, s[0:1], 0x8
	s_load_b256 s[0:7], s[0:1], 0x10
	s_waitcnt lgkmcnt(0)
	v_mad_u64_u32 v[1:2], null, s15, s8, v[0:1]
	s_delay_alu instid0(VALU_DEP_1) | instskip(SKIP_1) | instid1(VALU_DEP_2)
	v_dual_mov_b32 v4, 0 :: v_dual_add_nc_u32 v3, 0x80, v1
	v_ashrrev_i32_e32 v2, 31, v1
	v_lshlrev_b64 v[3:4], 2, v[3:4]
	s_delay_alu instid0(VALU_DEP_2) | instskip(NEXT) | instid1(VALU_DEP_1)
	v_lshlrev_b64 v[1:2], 2, v[1:2]
	v_add_co_u32 v5, vcc_lo, s0, v1
	s_delay_alu instid0(VALU_DEP_2) | instskip(NEXT) | instid1(VALU_DEP_4)
	v_add_co_ci_u32_e32 v6, vcc_lo, s1, v2, vcc_lo
	v_add_co_u32 v7, vcc_lo, s0, v3
	v_add_co_ci_u32_e32 v8, vcc_lo, s1, v4, vcc_lo
	v_add_co_u32 v9, vcc_lo, s2, v1
	;; [unrolled: 2-line block ×7, first 2 shown]
	v_add_co_ci_u32_e32 v4, vcc_lo, s7, v4, vcc_lo
	s_clause 0x1
	global_load_b32 v6, v[5:6], off
	global_load_b32 v7, v[7:8], off
	s_clause 0x1
	global_load_b32 v8, v[9:10], off
	global_load_b32 v9, v[11:12], off
	;; [unrolled: 3-line block ×4, first 2 shown]
	v_lshlrev_b32_e32 v5, 2, v0
	v_add_nc_u32_e32 v11, 1, v0
	v_cmp_gt_u32_e64 s0, 0x80, v0
	s_waitcnt vmcnt(6)
	ds_store_2addr_stride64_b32 v5, v6, v7 offset1:2
	s_waitcnt vmcnt(4)
	ds_store_2addr_stride64_b32 v5, v8, v9 offset0:4 offset1:6
	s_waitcnt vmcnt(2)
	ds_store_2addr_stride64_b32 v5, v10, v12 offset0:8 offset1:10
	;; [unrolled: 2-line block ×3, first 2 shown]
	s_waitcnt lgkmcnt(0)
	s_barrier
	buffer_gl0_inv
	s_and_saveexec_b32 s2, s0
	s_cbranch_execz .LBB7_2
; %bb.1:
	v_lshlrev_b32_e32 v6, 1, v11
	v_lshlrev_b32_e32 v10, 3, v11
	s_delay_alu instid0(VALU_DEP_2) | instskip(NEXT) | instid1(VALU_DEP_2)
	v_min_u32_e32 v6, 0xff, v6
	v_add_nc_u32_e32 v12, -8, v10
	s_delay_alu instid0(VALU_DEP_2)
	v_lshlrev_b32_e32 v18, 2, v6
	ds_load_2addr_b64 v[6:9], v10 offset0:127 offset1:255
	ds_load_b64 v[12:13], v12
	ds_load_2addr_stride64_b32 v[14:15], v18 offset1:4
	ds_load_b64 v[16:17], v10 offset:4088
	s_waitcnt lgkmcnt(2)
	v_div_scale_f32 v20, null, v6, v6, v13
	s_waitcnt lgkmcnt(1)
	v_div_scale_f32 v21, null, v15, v15, v9
	v_div_scale_f32 v26, s1, v9, v15, v9
	s_delay_alu instid0(VALU_DEP_3) | instskip(NEXT) | instid1(VALU_DEP_2)
	v_rcp_f32_e32 v22, v20
	v_rcp_f32_e32 v23, v21
	v_div_scale_f32 v25, vcc_lo, v13, v6, v13
	s_waitcnt_depctr 0xfff
	v_fma_f32 v19, -v20, v22, 1.0
	v_fma_f32 v24, -v21, v23, 1.0
	s_delay_alu instid0(VALU_DEP_1) | instskip(NEXT) | instid1(VALU_DEP_1)
	v_fmac_f32_e32 v23, v24, v23
	v_mul_f32_e32 v27, v26, v23
	s_delay_alu instid0(VALU_DEP_1) | instskip(NEXT) | instid1(VALU_DEP_1)
	v_fma_f32 v28, -v21, v27, v26
	v_dual_fmac_f32 v22, v19, v22 :: v_dual_fmac_f32 v27, v28, v23
	s_delay_alu instid0(VALU_DEP_1) | instskip(NEXT) | instid1(VALU_DEP_2)
	v_mul_f32_e32 v24, v25, v22
	v_fma_f32 v21, -v21, v27, v26
	s_delay_alu instid0(VALU_DEP_2) | instskip(NEXT) | instid1(VALU_DEP_1)
	v_fma_f32 v19, -v20, v24, v25
	v_fmac_f32_e32 v24, v19, v22
	ds_load_2addr_stride64_b32 v[18:19], v18 offset0:8 offset1:16
	v_fma_f32 v20, -v20, v24, v25
	s_delay_alu instid0(VALU_DEP_1) | instskip(SKIP_2) | instid1(VALU_DEP_2)
	v_div_fmas_f32 v20, v20, v22, v24
	s_mov_b32 vcc_lo, s1
	v_div_fmas_f32 v21, v21, v23, v27
	v_div_fixup_f32 v6, v20, v6, v13
	s_delay_alu instid0(VALU_DEP_2) | instskip(SKIP_2) | instid1(VALU_DEP_3)
	v_div_fixup_f32 v9, v21, v15, v9
	v_add_nc_u32_e32 v15, 0xfc, v10
	s_waitcnt lgkmcnt(1)
	v_fma_f32 v13, -v6, v16, v17
	v_fma_f32 v7, -v6, v8, v7
	v_mul_f32_e64 v6, v6, -v12
	v_add_nc_u32_e32 v8, -4, v10
	s_waitcnt lgkmcnt(0)
	v_fma_f32 v12, -v9, v19, v13
	v_fma_f32 v7, -v9, v14, v7
	v_mul_f32_e64 v9, v9, -v18
	ds_store_b32 v10, v12 offset:4092
	ds_store_b32 v8, v6
	ds_store_2addr_stride64_b32 v15, v7, v9 offset0:3 offset1:7
.LBB7_2:
	s_or_b32 exec_lo, exec_lo, s2
	v_cmp_gt_u32_e64 s1, 64, v0
	v_lshlrev_b32_e32 v6, 4, v11
	s_waitcnt lgkmcnt(0)
	s_barrier
	buffer_gl0_inv
	s_and_saveexec_b32 s3, s1
	s_cbranch_execz .LBB7_4
; %bb.3:
	v_lshl_or_b32 v7, v11, 2, 1
	v_add_nc_u32_e32 v18, -4, v6
	v_add_nc_u32_e32 v15, 0xc00, v6
	s_delay_alu instid0(VALU_DEP_3)
	v_min_u32_e32 v9, 0xff, v7
	ds_load_2addr_b32 v[7:8], v6 offset0:253 offset1:255
	ds_load_b32 v19, v18
	v_lshlrev_b32_e32 v16, 2, v9
	s_waitcnt lgkmcnt(0)
	v_div_scale_f32 v24, vcc_lo, v19, v7, v19
	v_add_nc_u32_e32 v10, 0x400, v6
	v_div_scale_f32 v17, null, v7, v7, v19
	ds_load_2addr_b32 v[9:10], v10 offset0:253 offset1:255
	ds_load_2addr_stride64_b32 v[12:13], v16 offset1:4
	v_rcp_f32_e32 v21, v17
	s_waitcnt lgkmcnt(0)
	v_div_scale_f32 v22, null, v13, v13, v10
	v_div_scale_f32 v26, s2, v10, v13, v10
	v_add_nc_u32_e32 v14, -12, v6
	s_delay_alu instid0(VALU_DEP_3) | instskip(SKIP_2) | instid1(VALU_DEP_1)
	v_rcp_f32_e32 v23, v22
	ds_load_b32 v20, v14
	v_fma_f32 v14, -v17, v21, 1.0
	v_fmac_f32_e32 v21, v14, v21
	v_fma_f32 v14, -v22, v23, 1.0
	s_delay_alu instid0(VALU_DEP_2) | instskip(NEXT) | instid1(VALU_DEP_2)
	v_mul_f32_e32 v25, v24, v21
	v_fmac_f32_e32 v23, v14, v23
	s_delay_alu instid0(VALU_DEP_2) | instskip(NEXT) | instid1(VALU_DEP_2)
	v_fma_f32 v14, -v17, v25, v24
	v_mul_f32_e32 v27, v26, v23
	s_delay_alu instid0(VALU_DEP_2)
	v_fmac_f32_e32 v25, v14, v21
	ds_load_2addr_b32 v[14:15], v15 offset0:253 offset1:255
	v_fma_f32 v28, -v22, v27, v26
	v_fma_f32 v24, -v17, v25, v24
	ds_load_2addr_stride64_b32 v[16:17], v16 offset0:8 offset1:16
	v_fmac_f32_e32 v27, v28, v23
	v_div_fmas_f32 v21, v24, v21, v25
	s_mov_b32 vcc_lo, s2
	s_delay_alu instid0(VALU_DEP_2) | instskip(NEXT) | instid1(VALU_DEP_2)
	v_fma_f32 v22, -v22, v27, v26
	v_div_fixup_f32 v7, v21, v7, v19
	s_delay_alu instid0(VALU_DEP_2) | instskip(NEXT) | instid1(VALU_DEP_2)
	v_div_fmas_f32 v19, v22, v23, v27
	v_fma_f32 v8, -v7, v9, v8
	s_waitcnt lgkmcnt(1)
	v_fma_f32 v14, -v7, v14, v15
	s_delay_alu instid0(VALU_DEP_3) | instskip(SKIP_3) | instid1(VALU_DEP_3)
	v_div_fixup_f32 v10, v19, v13, v10
	v_mul_f32_e64 v7, v7, -v20
	v_add_nc_u32_e32 v9, 0xfc, v6
	s_waitcnt lgkmcnt(0)
	v_fma_f32 v13, -v10, v17, v14
	v_fma_f32 v8, -v10, v12, v8
	v_mul_f32_e64 v10, v10, -v16
	ds_store_b32 v6, v13 offset:4092
	ds_store_b32 v18, v7
	ds_store_2addr_stride64_b32 v9, v8, v10 offset0:3 offset1:7
.LBB7_4:
	s_or_b32 exec_lo, exec_lo, s3
	s_waitcnt lgkmcnt(0)
	s_barrier
	buffer_gl0_inv
	s_and_saveexec_b32 s2, s1
	s_cbranch_execz .LBB7_6
; %bb.5:
	v_add_nc_u32_e32 v7, 0xfc, v6
	v_add_nc_u32_e32 v9, -4, v6
	ds_load_2addr_stride64_b32 v[7:8], v7 offset0:3 offset1:7
	ds_load_b32 v9, v9
	ds_load_b32 v10, v6 offset:4092
	s_waitcnt lgkmcnt(1)
	ds_store_2addr_stride64_b32 v5, v9, v7 offset0:20 offset1:21
	s_waitcnt lgkmcnt(1)
	ds_store_2addr_stride64_b32 v5, v8, v10 offset0:22 offset1:24
.LBB7_6:
	s_or_b32 exec_lo, exec_lo, s2
	v_or_b32_e32 v8, 0x1400, v5
	v_or_b32_e32 v10, 0x1600, v5
	v_add_nc_u32_e32 v9, 0x1500, v5
	v_or_b32_e32 v7, 0x1800, v5
	s_waitcnt lgkmcnt(0)
	s_barrier
	buffer_gl0_inv
                                        ; implicit-def: $vgpr14
                                        ; implicit-def: $vgpr15
                                        ; implicit-def: $vgpr13
                                        ; implicit-def: $vgpr12
	s_and_saveexec_b32 s3, s1
	s_cbranch_execz .LBB7_8
; %bb.7:
	v_max_u32_e32 v12, 1, v0
	v_min_u32_e32 v11, 63, v11
	s_delay_alu instid0(VALU_DEP_2) | instskip(NEXT) | instid1(VALU_DEP_2)
	v_lshlrev_b32_e32 v12, 2, v12
	v_lshlrev_b32_e32 v17, 2, v11
	s_delay_alu instid0(VALU_DEP_2)
	v_add_nc_u32_e32 v15, 0xfc, v12
	ds_load_2addr_stride64_b32 v[11:12], v15 offset0:19 offset1:20
	ds_load_b32 v19, v8
	ds_load_2addr_stride64_b32 v[13:14], v17 offset0:20 offset1:21
	ds_load_b32 v20, v10
	ds_load_b32 v21, v9
	;; [unrolled: 1-line block ×3, first 2 shown]
	s_waitcnt lgkmcnt(4)
	v_div_scale_f32 v18, null, v12, v12, v19
	s_waitcnt lgkmcnt(2)
	v_div_scale_f32 v23, null, v14, v14, v20
	v_div_scale_f32 v27, vcc_lo, v19, v12, v19
	s_delay_alu instid0(VALU_DEP_3) | instskip(NEXT) | instid1(VALU_DEP_2)
	v_rcp_f32_e32 v24, v18
	v_rcp_f32_e32 v25, v23
	v_div_scale_f32 v28, s2, v20, v14, v20
	s_waitcnt_depctr 0xfff
	v_fma_f32 v16, -v18, v24, 1.0
	v_fma_f32 v26, -v23, v25, 1.0
	s_delay_alu instid0(VALU_DEP_1) | instskip(SKIP_2) | instid1(VALU_DEP_1)
	v_dual_fmac_f32 v24, v16, v24 :: v_dual_fmac_f32 v25, v26, v25
	ds_load_2addr_stride64_b32 v[15:16], v15 offset0:21 offset1:23
	v_dual_mul_f32 v26, v27, v24 :: v_dual_mul_f32 v29, v28, v25
	v_fma_f32 v30, -v18, v26, v27
	s_delay_alu instid0(VALU_DEP_2) | instskip(NEXT) | instid1(VALU_DEP_1)
	v_fma_f32 v31, -v23, v29, v28
	v_dual_fmac_f32 v26, v30, v24 :: v_dual_fmac_f32 v29, v31, v25
	s_delay_alu instid0(VALU_DEP_1) | instskip(SKIP_4) | instid1(VALU_DEP_2)
	v_fma_f32 v27, -v18, v26, v27
	ds_load_2addr_stride64_b32 v[17:18], v17 offset0:22 offset1:24
	v_fma_f32 v23, -v23, v29, v28
	v_div_fmas_f32 v24, v27, v24, v26
	s_mov_b32 vcc_lo, s2
	v_div_fmas_f32 v23, v23, v25, v29
	s_delay_alu instid0(VALU_DEP_2) | instskip(NEXT) | instid1(VALU_DEP_2)
	v_div_fixup_f32 v12, v24, v12, v19
	v_div_fixup_f32 v19, v23, v14, v20
	s_waitcnt lgkmcnt(1)
	s_delay_alu instid0(VALU_DEP_2) | instskip(SKIP_2) | instid1(VALU_DEP_3)
	v_fma_f32 v14, -v12, v15, v21
	v_fma_f32 v15, -v12, v16, v22
	v_mul_f32_e64 v12, v12, -v11
	v_fma_f32 v13, -v19, v13, v14
	s_waitcnt lgkmcnt(0)
	s_delay_alu instid0(VALU_DEP_3)
	v_fma_f32 v14, -v19, v18, v15
	v_mul_f32_e64 v15, v19, -v17
.LBB7_8:
	s_or_b32 exec_lo, exec_lo, s3
	s_barrier
	buffer_gl0_inv
	s_and_saveexec_b32 s2, s1
	s_cbranch_execz .LBB7_10
; %bb.9:
	ds_store_b32 v7, v14
	ds_store_b32 v8, v12
	;; [unrolled: 1-line block ×4, first 2 shown]
.LBB7_10:
	s_or_b32 exec_lo, exec_lo, s2
	s_waitcnt lgkmcnt(0)
	s_barrier
	buffer_gl0_inv
	s_and_saveexec_b32 s3, s1
	s_cbranch_execz .LBB7_12
; %bb.11:
	v_max_u32_e32 v11, 2, v0
	v_min_u32_e32 v12, 61, v0
	s_delay_alu instid0(VALU_DEP_2) | instskip(NEXT) | instid1(VALU_DEP_2)
	v_lshlrev_b32_e32 v11, 2, v11
	v_lshlrev_b32_e32 v12, 2, v12
	s_delay_alu instid0(VALU_DEP_2) | instskip(NEXT) | instid1(VALU_DEP_2)
	v_add_nc_u32_e32 v15, 0xf8, v11
	v_add_nc_u32_e32 v17, 8, v12
	ds_load_2addr_stride64_b32 v[11:12], v15 offset0:19 offset1:20
	ds_load_b32 v19, v8
	ds_load_2addr_stride64_b32 v[13:14], v17 offset0:20 offset1:21
	ds_load_b32 v20, v10
	ds_load_b32 v21, v9
	;; [unrolled: 1-line block ×3, first 2 shown]
	s_waitcnt lgkmcnt(4)
	v_div_scale_f32 v18, null, v12, v12, v19
	s_waitcnt lgkmcnt(2)
	v_div_scale_f32 v23, null, v14, v14, v20
	v_div_scale_f32 v27, vcc_lo, v19, v12, v19
	s_delay_alu instid0(VALU_DEP_3) | instskip(NEXT) | instid1(VALU_DEP_2)
	v_rcp_f32_e32 v24, v18
	v_rcp_f32_e32 v25, v23
	v_div_scale_f32 v28, s2, v20, v14, v20
	s_waitcnt_depctr 0xfff
	v_fma_f32 v16, -v18, v24, 1.0
	v_fma_f32 v26, -v23, v25, 1.0
	s_delay_alu instid0(VALU_DEP_1) | instskip(NEXT) | instid1(VALU_DEP_1)
	v_dual_fmac_f32 v24, v16, v24 :: v_dual_fmac_f32 v25, v26, v25
	v_mul_f32_e32 v26, v27, v24
	ds_load_2addr_stride64_b32 v[15:16], v15 offset0:21 offset1:23
	v_fma_f32 v30, -v18, v26, v27
	s_delay_alu instid0(VALU_DEP_1) | instskip(NEXT) | instid1(VALU_DEP_1)
	v_dual_mul_f32 v29, v28, v25 :: v_dual_fmac_f32 v26, v30, v24
	v_fma_f32 v31, -v23, v29, v28
	s_delay_alu instid0(VALU_DEP_2) | instskip(NEXT) | instid1(VALU_DEP_2)
	v_fma_f32 v27, -v18, v26, v27
	v_fmac_f32_e32 v29, v31, v25
	ds_load_2addr_stride64_b32 v[17:18], v17 offset0:22 offset1:24
	v_div_fmas_f32 v24, v27, v24, v26
	v_fma_f32 v23, -v23, v29, v28
	s_mov_b32 vcc_lo, s2
	s_delay_alu instid0(VALU_DEP_2) | instskip(NEXT) | instid1(VALU_DEP_2)
	v_div_fixup_f32 v12, v24, v12, v19
	v_div_fmas_f32 v23, v23, v25, v29
	s_delay_alu instid0(VALU_DEP_1) | instskip(SKIP_1) | instid1(VALU_DEP_3)
	v_div_fixup_f32 v19, v23, v14, v20
	s_waitcnt lgkmcnt(1)
	v_fma_f32 v14, -v12, v15, v21
	v_fma_f32 v15, -v12, v16, v22
	v_mul_f32_e64 v12, v12, -v11
	s_delay_alu instid0(VALU_DEP_3) | instskip(SKIP_1) | instid1(VALU_DEP_3)
	v_fma_f32 v13, -v19, v13, v14
	s_waitcnt lgkmcnt(0)
	v_fma_f32 v14, -v19, v18, v15
	v_mul_f32_e64 v15, v19, -v17
.LBB7_12:
	s_or_b32 exec_lo, exec_lo, s3
	s_barrier
	buffer_gl0_inv
	s_and_saveexec_b32 s2, s1
	s_cbranch_execz .LBB7_14
; %bb.13:
	ds_store_b32 v7, v14
	ds_store_b32 v8, v12
	;; [unrolled: 1-line block ×4, first 2 shown]
.LBB7_14:
	s_or_b32 exec_lo, exec_lo, s2
	s_waitcnt lgkmcnt(0)
	s_barrier
	buffer_gl0_inv
	s_and_saveexec_b32 s3, s1
	s_cbranch_execz .LBB7_16
; %bb.15:
	v_max_u32_e32 v11, 4, v0
	v_min_u32_e32 v12, 59, v0
	s_delay_alu instid0(VALU_DEP_2) | instskip(NEXT) | instid1(VALU_DEP_2)
	v_lshlrev_b32_e32 v11, 2, v11
	v_lshlrev_b32_e32 v12, 2, v12
	s_delay_alu instid0(VALU_DEP_2) | instskip(NEXT) | instid1(VALU_DEP_2)
	v_add_nc_u32_e32 v15, 0xf0, v11
	v_add_nc_u32_e32 v17, 16, v12
	ds_load_2addr_stride64_b32 v[11:12], v15 offset0:19 offset1:20
	ds_load_b32 v19, v8
	ds_load_2addr_stride64_b32 v[13:14], v17 offset0:20 offset1:21
	ds_load_b32 v20, v10
	ds_load_b32 v21, v9
	ds_load_b32 v22, v7
	s_waitcnt lgkmcnt(4)
	v_div_scale_f32 v18, null, v12, v12, v19
	s_waitcnt lgkmcnt(2)
	v_div_scale_f32 v23, null, v14, v14, v20
	v_div_scale_f32 v27, vcc_lo, v19, v12, v19
	s_delay_alu instid0(VALU_DEP_3) | instskip(NEXT) | instid1(VALU_DEP_2)
	v_rcp_f32_e32 v24, v18
	v_rcp_f32_e32 v25, v23
	v_div_scale_f32 v28, s2, v20, v14, v20
	s_waitcnt_depctr 0xfff
	v_fma_f32 v16, -v18, v24, 1.0
	v_fma_f32 v26, -v23, v25, 1.0
	s_delay_alu instid0(VALU_DEP_1) | instskip(NEXT) | instid1(VALU_DEP_1)
	v_dual_fmac_f32 v24, v16, v24 :: v_dual_fmac_f32 v25, v26, v25
	v_mul_f32_e32 v26, v27, v24
	ds_load_2addr_stride64_b32 v[15:16], v15 offset0:21 offset1:23
	v_fma_f32 v30, -v18, v26, v27
	s_delay_alu instid0(VALU_DEP_1) | instskip(NEXT) | instid1(VALU_DEP_1)
	v_dual_mul_f32 v29, v28, v25 :: v_dual_fmac_f32 v26, v30, v24
	v_fma_f32 v31, -v23, v29, v28
	s_delay_alu instid0(VALU_DEP_2) | instskip(NEXT) | instid1(VALU_DEP_2)
	v_fma_f32 v27, -v18, v26, v27
	v_fmac_f32_e32 v29, v31, v25
	ds_load_2addr_stride64_b32 v[17:18], v17 offset0:22 offset1:24
	v_div_fmas_f32 v24, v27, v24, v26
	v_fma_f32 v23, -v23, v29, v28
	s_mov_b32 vcc_lo, s2
	s_delay_alu instid0(VALU_DEP_2) | instskip(NEXT) | instid1(VALU_DEP_2)
	v_div_fixup_f32 v12, v24, v12, v19
	v_div_fmas_f32 v23, v23, v25, v29
	s_delay_alu instid0(VALU_DEP_1) | instskip(SKIP_1) | instid1(VALU_DEP_3)
	v_div_fixup_f32 v19, v23, v14, v20
	s_waitcnt lgkmcnt(1)
	v_fma_f32 v14, -v12, v15, v21
	v_fma_f32 v15, -v12, v16, v22
	v_mul_f32_e64 v12, v12, -v11
	s_delay_alu instid0(VALU_DEP_3) | instskip(SKIP_1) | instid1(VALU_DEP_3)
	v_fma_f32 v13, -v19, v13, v14
	s_waitcnt lgkmcnt(0)
	v_fma_f32 v14, -v19, v18, v15
	v_mul_f32_e64 v15, v19, -v17
.LBB7_16:
	s_or_b32 exec_lo, exec_lo, s3
	s_barrier
	buffer_gl0_inv
	s_and_saveexec_b32 s2, s1
	s_cbranch_execz .LBB7_18
; %bb.17:
	ds_store_b32 v7, v14
	ds_store_b32 v8, v12
	;; [unrolled: 1-line block ×4, first 2 shown]
.LBB7_18:
	s_or_b32 exec_lo, exec_lo, s2
	s_waitcnt lgkmcnt(0)
	s_barrier
	buffer_gl0_inv
	s_and_saveexec_b32 s3, s1
	s_cbranch_execz .LBB7_20
; %bb.19:
	v_max_u32_e32 v11, 8, v0
	v_min_u32_e32 v12, 55, v0
	s_delay_alu instid0(VALU_DEP_2) | instskip(NEXT) | instid1(VALU_DEP_2)
	v_lshlrev_b32_e32 v11, 2, v11
	v_lshlrev_b32_e32 v12, 2, v12
	s_delay_alu instid0(VALU_DEP_2) | instskip(NEXT) | instid1(VALU_DEP_2)
	v_add_nc_u32_e32 v15, 0xe0, v11
	v_add_nc_u32_e32 v17, 32, v12
	ds_load_2addr_stride64_b32 v[11:12], v15 offset0:19 offset1:20
	ds_load_b32 v19, v8
	ds_load_2addr_stride64_b32 v[13:14], v17 offset0:20 offset1:21
	ds_load_b32 v20, v10
	ds_load_b32 v21, v9
	;; [unrolled: 1-line block ×3, first 2 shown]
	s_waitcnt lgkmcnt(4)
	v_div_scale_f32 v18, null, v12, v12, v19
	s_waitcnt lgkmcnt(2)
	v_div_scale_f32 v23, null, v14, v14, v20
	v_div_scale_f32 v27, vcc_lo, v19, v12, v19
	s_delay_alu instid0(VALU_DEP_3) | instskip(NEXT) | instid1(VALU_DEP_2)
	v_rcp_f32_e32 v24, v18
	v_rcp_f32_e32 v25, v23
	v_div_scale_f32 v28, s2, v20, v14, v20
	s_waitcnt_depctr 0xfff
	v_fma_f32 v16, -v18, v24, 1.0
	v_fma_f32 v26, -v23, v25, 1.0
	s_delay_alu instid0(VALU_DEP_1) | instskip(NEXT) | instid1(VALU_DEP_1)
	v_dual_fmac_f32 v24, v16, v24 :: v_dual_fmac_f32 v25, v26, v25
	v_mul_f32_e32 v26, v27, v24
	ds_load_2addr_stride64_b32 v[15:16], v15 offset0:21 offset1:23
	v_fma_f32 v30, -v18, v26, v27
	s_delay_alu instid0(VALU_DEP_1) | instskip(NEXT) | instid1(VALU_DEP_1)
	v_dual_mul_f32 v29, v28, v25 :: v_dual_fmac_f32 v26, v30, v24
	v_fma_f32 v31, -v23, v29, v28
	s_delay_alu instid0(VALU_DEP_2) | instskip(NEXT) | instid1(VALU_DEP_2)
	v_fma_f32 v27, -v18, v26, v27
	v_fmac_f32_e32 v29, v31, v25
	ds_load_2addr_stride64_b32 v[17:18], v17 offset0:22 offset1:24
	v_div_fmas_f32 v24, v27, v24, v26
	v_fma_f32 v23, -v23, v29, v28
	s_mov_b32 vcc_lo, s2
	s_delay_alu instid0(VALU_DEP_2) | instskip(NEXT) | instid1(VALU_DEP_2)
	v_div_fixup_f32 v12, v24, v12, v19
	v_div_fmas_f32 v23, v23, v25, v29
	s_delay_alu instid0(VALU_DEP_1) | instskip(SKIP_1) | instid1(VALU_DEP_3)
	v_div_fixup_f32 v19, v23, v14, v20
	s_waitcnt lgkmcnt(1)
	v_fma_f32 v14, -v12, v15, v21
	v_fma_f32 v15, -v12, v16, v22
	v_mul_f32_e64 v12, v12, -v11
	s_delay_alu instid0(VALU_DEP_3) | instskip(SKIP_1) | instid1(VALU_DEP_3)
	v_fma_f32 v13, -v19, v13, v14
	s_waitcnt lgkmcnt(0)
	v_fma_f32 v14, -v19, v18, v15
	v_mul_f32_e64 v15, v19, -v17
.LBB7_20:
	s_or_b32 exec_lo, exec_lo, s3
	s_barrier
	buffer_gl0_inv
	s_and_saveexec_b32 s2, s1
	s_cbranch_execz .LBB7_22
; %bb.21:
	ds_store_b32 v7, v14
	ds_store_b32 v8, v12
	;; [unrolled: 1-line block ×4, first 2 shown]
.LBB7_22:
	s_or_b32 exec_lo, exec_lo, s2
	s_waitcnt lgkmcnt(0)
	s_barrier
	buffer_gl0_inv
	s_and_saveexec_b32 s3, s1
	s_cbranch_execz .LBB7_24
; %bb.23:
	v_max_u32_e32 v11, 16, v0
	v_min_u32_e32 v12, 47, v0
	s_delay_alu instid0(VALU_DEP_2) | instskip(NEXT) | instid1(VALU_DEP_2)
	v_lshlrev_b32_e32 v11, 2, v11
	v_lshlrev_b32_e32 v12, 2, v12
	s_delay_alu instid0(VALU_DEP_2) | instskip(NEXT) | instid1(VALU_DEP_2)
	v_add_nc_u32_e32 v15, 0xc0, v11
	v_add_nc_u32_e32 v17, 64, v12
	ds_load_2addr_stride64_b32 v[11:12], v15 offset0:19 offset1:20
	ds_load_b32 v19, v8
	ds_load_2addr_stride64_b32 v[13:14], v17 offset0:20 offset1:21
	ds_load_b32 v20, v10
	ds_load_b32 v21, v9
	;; [unrolled: 1-line block ×3, first 2 shown]
	s_waitcnt lgkmcnt(4)
	v_div_scale_f32 v18, null, v12, v12, v19
	s_waitcnt lgkmcnt(2)
	v_div_scale_f32 v23, null, v14, v14, v20
	v_div_scale_f32 v27, vcc_lo, v19, v12, v19
	s_delay_alu instid0(VALU_DEP_3) | instskip(NEXT) | instid1(VALU_DEP_2)
	v_rcp_f32_e32 v24, v18
	v_rcp_f32_e32 v25, v23
	v_div_scale_f32 v28, s2, v20, v14, v20
	s_waitcnt_depctr 0xfff
	v_fma_f32 v16, -v18, v24, 1.0
	v_fma_f32 v26, -v23, v25, 1.0
	s_delay_alu instid0(VALU_DEP_1) | instskip(NEXT) | instid1(VALU_DEP_1)
	v_dual_fmac_f32 v24, v16, v24 :: v_dual_fmac_f32 v25, v26, v25
	v_mul_f32_e32 v26, v27, v24
	ds_load_2addr_stride64_b32 v[15:16], v15 offset0:21 offset1:23
	v_fma_f32 v30, -v18, v26, v27
	s_delay_alu instid0(VALU_DEP_1) | instskip(NEXT) | instid1(VALU_DEP_1)
	v_dual_mul_f32 v29, v28, v25 :: v_dual_fmac_f32 v26, v30, v24
	v_fma_f32 v31, -v23, v29, v28
	s_delay_alu instid0(VALU_DEP_2) | instskip(NEXT) | instid1(VALU_DEP_2)
	v_fma_f32 v27, -v18, v26, v27
	v_fmac_f32_e32 v29, v31, v25
	ds_load_2addr_stride64_b32 v[17:18], v17 offset0:22 offset1:24
	v_div_fmas_f32 v24, v27, v24, v26
	v_fma_f32 v23, -v23, v29, v28
	s_mov_b32 vcc_lo, s2
	s_delay_alu instid0(VALU_DEP_2) | instskip(NEXT) | instid1(VALU_DEP_2)
	v_div_fixup_f32 v12, v24, v12, v19
	v_div_fmas_f32 v23, v23, v25, v29
	s_delay_alu instid0(VALU_DEP_1) | instskip(SKIP_1) | instid1(VALU_DEP_3)
	v_div_fixup_f32 v19, v23, v14, v20
	s_waitcnt lgkmcnt(1)
	v_fma_f32 v14, -v12, v15, v21
	v_fma_f32 v15, -v12, v16, v22
	v_mul_f32_e64 v12, v12, -v11
	s_delay_alu instid0(VALU_DEP_3) | instskip(SKIP_1) | instid1(VALU_DEP_3)
	v_fma_f32 v13, -v19, v13, v14
	s_waitcnt lgkmcnt(0)
	v_fma_f32 v14, -v19, v18, v15
	v_mul_f32_e64 v15, v19, -v17
.LBB7_24:
	s_or_b32 exec_lo, exec_lo, s3
	s_barrier
	buffer_gl0_inv
	s_and_saveexec_b32 s2, s1
	s_cbranch_execz .LBB7_26
; %bb.25:
	ds_store_b32 v7, v14
	ds_store_b32 v8, v12
	;; [unrolled: 1-line block ×4, first 2 shown]
.LBB7_26:
	s_or_b32 exec_lo, exec_lo, s2
	s_delay_alu instid0(SALU_CYCLE_1)
	s_mov_b32 s2, exec_lo
	s_waitcnt lgkmcnt(0)
	s_barrier
	buffer_gl0_inv
	v_cmpx_gt_u32_e32 32, v0
	s_cbranch_execz .LBB7_28
; %bb.27:
	ds_load_b32 v12, v10
	ds_load_b32 v13, v8 offset:128
	ds_load_2addr_b32 v[8:9], v9 offset1:32
	s_waitcnt lgkmcnt(1)
	v_mul_f32_e32 v10, v12, v13
	s_waitcnt lgkmcnt(0)
	s_delay_alu instid0(VALU_DEP_1) | instskip(NEXT) | instid1(VALU_DEP_1)
	v_fma_f32 v14, v9, v8, -v10
	v_div_scale_f32 v15, null, v14, v14, 1.0
	v_div_scale_f32 v17, vcc_lo, 1.0, v14, 1.0
	s_delay_alu instid0(VALU_DEP_2) | instskip(SKIP_2) | instid1(VALU_DEP_1)
	v_rcp_f32_e32 v16, v15
	s_waitcnt_depctr 0xfff
	v_fma_f32 v10, -v15, v16, 1.0
	v_fmac_f32_e32 v16, v10, v16
	ds_load_2addr_b32 v[10:11], v7 offset1:32
	s_waitcnt lgkmcnt(0)
	v_mul_f32_e32 v13, v13, v10
	v_dual_mul_f32 v7, v17, v16 :: v_dual_mul_f32 v12, v12, v11
	s_delay_alu instid0(VALU_DEP_2) | instskip(NEXT) | instid1(VALU_DEP_2)
	v_fma_f32 v8, v8, v11, -v13
	v_fma_f32 v18, -v15, v7, v17
	s_delay_alu instid0(VALU_DEP_3) | instskip(NEXT) | instid1(VALU_DEP_2)
	v_fma_f32 v9, v9, v10, -v12
	v_fmac_f32_e32 v7, v18, v16
	s_delay_alu instid0(VALU_DEP_1) | instskip(NEXT) | instid1(VALU_DEP_1)
	v_fma_f32 v15, -v15, v7, v17
	v_div_fmas_f32 v7, v15, v16, v7
	s_delay_alu instid0(VALU_DEP_1) | instskip(NEXT) | instid1(VALU_DEP_1)
	v_div_fixup_f32 v7, v7, v14, 1.0
	v_mul_f32_e32 v9, v7, v9
	v_dual_mul_f32 v7, v7, v8 :: v_dual_add_nc_u32 v8, 0x1400, v5
	ds_store_2addr_b32 v8, v9, v7 offset0:192 offset1:224
.LBB7_28:
	s_or_b32 exec_lo, exec_lo, s2
	s_waitcnt lgkmcnt(0)
	s_barrier
	buffer_gl0_inv
	s_and_saveexec_b32 s2, s1
	s_cbranch_execz .LBB7_30
; %bb.29:
	ds_load_b32 v7, v5 offset:5888
	s_waitcnt lgkmcnt(0)
	ds_store_b32 v6, v7 offset:3068
.LBB7_30:
	s_or_b32 exec_lo, exec_lo, s2
	s_waitcnt lgkmcnt(0)
	s_barrier
	buffer_gl0_inv
	s_and_saveexec_b32 s2, s1
	s_cbranch_execz .LBB7_36
; %bb.31:
	v_lshlrev_b32_e32 v6, 2, v5
	s_mov_b32 s1, exec_lo
                                        ; implicit-def: $vgpr7
	v_cmpx_ne_u32_e32 0, v0
	s_xor_b32 s1, exec_lo, s1
	s_cbranch_execz .LBB7_33
; %bb.32:
	ds_load_b32 v7, v6 offset:4
	ds_load_b32 v8, v6 offset:4100
	;; [unrolled: 1-line block ×3, first 2 shown]
	s_waitcnt lgkmcnt(0)
	v_fma_f32 v7, -v7, v9, v8
.LBB7_33:
	s_and_not1_saveexec_b32 s1, s1
	s_cbranch_execz .LBB7_35
; %bb.34:
	ds_load_b32 v7, v6 offset:4100
.LBB7_35:
	s_or_b32 exec_lo, exec_lo, s1
	v_add_nc_u32_e32 v8, 4, v6
	ds_load_b32 v10, v6 offset:3084
	ds_load_2addr_stride64_b32 v[8:9], v8 offset0:4 offset1:8
	s_waitcnt lgkmcnt(0)
	v_fma_f32 v7, -v9, v10, v7
	s_delay_alu instid0(VALU_DEP_1) | instskip(NEXT) | instid1(VALU_DEP_1)
	v_div_scale_f32 v9, null, v8, v8, v7
	v_rcp_f32_e32 v10, v9
	s_waitcnt_depctr 0xfff
	v_fma_f32 v11, -v9, v10, 1.0
	s_delay_alu instid0(VALU_DEP_1) | instskip(SKIP_1) | instid1(VALU_DEP_1)
	v_fmac_f32_e32 v10, v11, v10
	v_div_scale_f32 v11, vcc_lo, v7, v8, v7
	v_mul_f32_e32 v12, v11, v10
	s_delay_alu instid0(VALU_DEP_1) | instskip(NEXT) | instid1(VALU_DEP_1)
	v_fma_f32 v13, -v9, v12, v11
	v_fmac_f32_e32 v12, v13, v10
	s_delay_alu instid0(VALU_DEP_1) | instskip(NEXT) | instid1(VALU_DEP_1)
	v_fma_f32 v9, -v9, v12, v11
	v_div_fmas_f32 v9, v9, v10, v12
	s_delay_alu instid0(VALU_DEP_1)
	v_div_fixup_f32 v7, v9, v8, v7
	ds_store_b32 v6, v7 offset:3076
.LBB7_36:
	s_or_b32 exec_lo, exec_lo, s2
	s_waitcnt lgkmcnt(0)
	s_barrier
	buffer_gl0_inv
	s_and_saveexec_b32 s1, s0
	s_cbranch_execz .LBB7_42
; %bb.37:
	v_lshlrev_b32_e32 v6, 1, v0
	v_cmp_ne_u32_e32 vcc_lo, 0, v0
	s_delay_alu instid0(VALU_DEP_2) | instskip(SKIP_1) | instid1(SALU_CYCLE_1)
	v_lshlrev_b32_e32 v0, 2, v6
                                        ; implicit-def: $vgpr6
	s_and_saveexec_b32 s0, vcc_lo
	s_xor_b32 s0, exec_lo, s0
	s_cbranch_execz .LBB7_39
; %bb.38:
	ds_load_b32 v6, v0
	ds_load_b32 v7, v0 offset:4096
	ds_load_b32 v8, v0 offset:3068
	s_waitcnt lgkmcnt(0)
	v_fma_f32 v6, -v6, v8, v7
.LBB7_39:
	s_and_not1_saveexec_b32 s0, s0
	s_cbranch_execz .LBB7_41
; %bb.40:
	ds_load_b32 v6, v0 offset:4096
.LBB7_41:
	s_or_b32 exec_lo, exec_lo, s0
	ds_load_2addr_stride64_b32 v[7:8], v0 offset0:4 offset1:8
	ds_load_b32 v9, v0 offset:3076
	s_waitcnt lgkmcnt(0)
	v_fma_f32 v6, -v8, v9, v6
	s_delay_alu instid0(VALU_DEP_1) | instskip(NEXT) | instid1(VALU_DEP_1)
	v_div_scale_f32 v8, null, v7, v7, v6
	v_rcp_f32_e32 v9, v8
	s_waitcnt_depctr 0xfff
	v_fma_f32 v10, -v8, v9, 1.0
	s_delay_alu instid0(VALU_DEP_1) | instskip(SKIP_1) | instid1(VALU_DEP_1)
	v_fmac_f32_e32 v9, v10, v9
	v_div_scale_f32 v10, vcc_lo, v6, v7, v6
	v_mul_f32_e32 v11, v10, v9
	s_delay_alu instid0(VALU_DEP_1) | instskip(NEXT) | instid1(VALU_DEP_1)
	v_fma_f32 v12, -v8, v11, v10
	v_fmac_f32_e32 v11, v12, v9
	s_delay_alu instid0(VALU_DEP_1) | instskip(NEXT) | instid1(VALU_DEP_1)
	v_fma_f32 v8, -v8, v11, v10
	v_div_fmas_f32 v8, v8, v9, v11
	s_delay_alu instid0(VALU_DEP_1)
	v_div_fixup_f32 v6, v8, v7, v6
	ds_store_b32 v0, v6 offset:3072
.LBB7_42:
	s_or_b32 exec_lo, exec_lo, s1
	s_waitcnt lgkmcnt(0)
	s_barrier
	buffer_gl0_inv
	ds_load_2addr_stride64_b32 v[5:6], v5 offset0:12 offset1:14
	s_waitcnt lgkmcnt(0)
	s_clause 0x1
	global_store_b32 v[1:2], v5, off
	global_store_b32 v[3:4], v6, off
	s_nop 0
	s_sendmsg sendmsg(MSG_DEALLOC_VGPRS)
	s_endpgm
	.section	.rodata,"a",@progbits
	.p2align	6, 0x0
	.amdhsa_kernel _ZN9rocsparseL51gtsv_nopivot_strided_batch_crpcr_pow2_shared_kernelILj128ELj64EfEEviiiPKT1_S3_S3_PS1_
		.amdhsa_group_segment_fixed_size 6400
		.amdhsa_private_segment_fixed_size 0
		.amdhsa_kernarg_size 48
		.amdhsa_user_sgpr_count 15
		.amdhsa_user_sgpr_dispatch_ptr 0
		.amdhsa_user_sgpr_queue_ptr 0
		.amdhsa_user_sgpr_kernarg_segment_ptr 1
		.amdhsa_user_sgpr_dispatch_id 0
		.amdhsa_user_sgpr_private_segment_size 0
		.amdhsa_wavefront_size32 1
		.amdhsa_uses_dynamic_stack 0
		.amdhsa_enable_private_segment 0
		.amdhsa_system_sgpr_workgroup_id_x 1
		.amdhsa_system_sgpr_workgroup_id_y 0
		.amdhsa_system_sgpr_workgroup_id_z 0
		.amdhsa_system_sgpr_workgroup_info 0
		.amdhsa_system_vgpr_workitem_id 0
		.amdhsa_next_free_vgpr 32
		.amdhsa_next_free_sgpr 16
		.amdhsa_reserve_vcc 1
		.amdhsa_float_round_mode_32 0
		.amdhsa_float_round_mode_16_64 0
		.amdhsa_float_denorm_mode_32 3
		.amdhsa_float_denorm_mode_16_64 3
		.amdhsa_dx10_clamp 1
		.amdhsa_ieee_mode 1
		.amdhsa_fp16_overflow 0
		.amdhsa_workgroup_processor_mode 1
		.amdhsa_memory_ordered 1
		.amdhsa_forward_progress 0
		.amdhsa_shared_vgpr_count 0
		.amdhsa_exception_fp_ieee_invalid_op 0
		.amdhsa_exception_fp_denorm_src 0
		.amdhsa_exception_fp_ieee_div_zero 0
		.amdhsa_exception_fp_ieee_overflow 0
		.amdhsa_exception_fp_ieee_underflow 0
		.amdhsa_exception_fp_ieee_inexact 0
		.amdhsa_exception_int_div_zero 0
	.end_amdhsa_kernel
	.section	.text._ZN9rocsparseL51gtsv_nopivot_strided_batch_crpcr_pow2_shared_kernelILj128ELj64EfEEviiiPKT1_S3_S3_PS1_,"axG",@progbits,_ZN9rocsparseL51gtsv_nopivot_strided_batch_crpcr_pow2_shared_kernelILj128ELj64EfEEviiiPKT1_S3_S3_PS1_,comdat
.Lfunc_end7:
	.size	_ZN9rocsparseL51gtsv_nopivot_strided_batch_crpcr_pow2_shared_kernelILj128ELj64EfEEviiiPKT1_S3_S3_PS1_, .Lfunc_end7-_ZN9rocsparseL51gtsv_nopivot_strided_batch_crpcr_pow2_shared_kernelILj128ELj64EfEEviiiPKT1_S3_S3_PS1_
                                        ; -- End function
	.section	.AMDGPU.csdata,"",@progbits
; Kernel info:
; codeLenInByte = 4204
; NumSgprs: 18
; NumVgprs: 32
; ScratchSize: 0
; MemoryBound: 0
; FloatMode: 240
; IeeeMode: 1
; LDSByteSize: 6400 bytes/workgroup (compile time only)
; SGPRBlocks: 2
; VGPRBlocks: 3
; NumSGPRsForWavesPerEU: 18
; NumVGPRsForWavesPerEU: 32
; Occupancy: 16
; WaveLimiterHint : 0
; COMPUTE_PGM_RSRC2:SCRATCH_EN: 0
; COMPUTE_PGM_RSRC2:USER_SGPR: 15
; COMPUTE_PGM_RSRC2:TRAP_HANDLER: 0
; COMPUTE_PGM_RSRC2:TGID_X_EN: 1
; COMPUTE_PGM_RSRC2:TGID_Y_EN: 0
; COMPUTE_PGM_RSRC2:TGID_Z_EN: 0
; COMPUTE_PGM_RSRC2:TIDIG_COMP_CNT: 0
	.section	.text._ZN9rocsparseL51gtsv_nopivot_strided_batch_crpcr_pow2_shared_kernelILj256ELj64EfEEviiiPKT1_S3_S3_PS1_,"axG",@progbits,_ZN9rocsparseL51gtsv_nopivot_strided_batch_crpcr_pow2_shared_kernelILj256ELj64EfEEviiiPKT1_S3_S3_PS1_,comdat
	.globl	_ZN9rocsparseL51gtsv_nopivot_strided_batch_crpcr_pow2_shared_kernelILj256ELj64EfEEviiiPKT1_S3_S3_PS1_ ; -- Begin function _ZN9rocsparseL51gtsv_nopivot_strided_batch_crpcr_pow2_shared_kernelILj256ELj64EfEEviiiPKT1_S3_S3_PS1_
	.p2align	8
	.type	_ZN9rocsparseL51gtsv_nopivot_strided_batch_crpcr_pow2_shared_kernelILj256ELj64EfEEviiiPKT1_S3_S3_PS1_,@function
_ZN9rocsparseL51gtsv_nopivot_strided_batch_crpcr_pow2_shared_kernelILj256ELj64EfEEviiiPKT1_S3_S3_PS1_: ; @_ZN9rocsparseL51gtsv_nopivot_strided_batch_crpcr_pow2_shared_kernelILj256ELj64EfEEviiiPKT1_S3_S3_PS1_
; %bb.0:
	s_clause 0x1
	s_load_b32 s8, s[0:1], 0x8
	s_load_b256 s[0:7], s[0:1], 0x10
	s_waitcnt lgkmcnt(0)
	v_mad_u64_u32 v[1:2], null, s15, s8, v[0:1]
	s_delay_alu instid0(VALU_DEP_1) | instskip(SKIP_1) | instid1(VALU_DEP_2)
	v_dual_mov_b32 v4, 0 :: v_dual_add_nc_u32 v3, 0x100, v1
	v_ashrrev_i32_e32 v2, 31, v1
	v_lshlrev_b64 v[3:4], 2, v[3:4]
	s_delay_alu instid0(VALU_DEP_2) | instskip(NEXT) | instid1(VALU_DEP_1)
	v_lshlrev_b64 v[1:2], 2, v[1:2]
	v_add_co_u32 v5, vcc_lo, s0, v1
	s_delay_alu instid0(VALU_DEP_2) | instskip(NEXT) | instid1(VALU_DEP_4)
	v_add_co_ci_u32_e32 v6, vcc_lo, s1, v2, vcc_lo
	v_add_co_u32 v7, vcc_lo, s0, v3
	v_add_co_ci_u32_e32 v8, vcc_lo, s1, v4, vcc_lo
	v_add_co_u32 v9, vcc_lo, s2, v1
	;; [unrolled: 2-line block ×7, first 2 shown]
	v_add_co_ci_u32_e32 v4, vcc_lo, s7, v4, vcc_lo
	s_clause 0x1
	global_load_b32 v6, v[5:6], off
	global_load_b32 v7, v[7:8], off
	s_clause 0x1
	global_load_b32 v8, v[9:10], off
	global_load_b32 v9, v[11:12], off
	;; [unrolled: 3-line block ×4, first 2 shown]
	v_lshlrev_b32_e32 v5, 2, v0
	v_add_nc_u32_e32 v11, 1, v0
	v_cmp_gt_u32_e64 s0, 0x100, v0
	s_waitcnt vmcnt(6)
	ds_store_2addr_stride64_b32 v5, v6, v7 offset1:4
	s_waitcnt vmcnt(4)
	ds_store_2addr_stride64_b32 v5, v8, v9 offset0:8 offset1:12
	s_waitcnt vmcnt(2)
	ds_store_2addr_stride64_b32 v5, v10, v12 offset0:16 offset1:20
	;; [unrolled: 2-line block ×3, first 2 shown]
	s_waitcnt lgkmcnt(0)
	s_barrier
	buffer_gl0_inv
	s_and_saveexec_b32 s2, s0
	s_cbranch_execz .LBB8_2
; %bb.1:
	v_lshlrev_b32_e32 v6, 1, v11
	v_lshlrev_b32_e32 v10, 3, v11
	s_delay_alu instid0(VALU_DEP_2) | instskip(NEXT) | instid1(VALU_DEP_2)
	v_min_u32_e32 v6, 0x1ff, v6
	v_add_nc_u32_e32 v7, 0x1f8, v10
	v_add_nc_u32_e32 v12, -8, v10
	s_delay_alu instid0(VALU_DEP_3)
	v_lshlrev_b32_e32 v18, 2, v6
	ds_load_2addr_stride64_b64 v[6:9], v7 offset0:3 offset1:7
	ds_load_b64 v[12:13], v12
	ds_load_2addr_stride64_b32 v[14:15], v18 offset1:8
	ds_load_b64 v[16:17], v10 offset:8184
	s_waitcnt lgkmcnt(2)
	v_div_scale_f32 v20, null, v6, v6, v13
	s_waitcnt lgkmcnt(1)
	v_div_scale_f32 v21, null, v15, v15, v9
	v_div_scale_f32 v26, s1, v9, v15, v9
	s_delay_alu instid0(VALU_DEP_3) | instskip(NEXT) | instid1(VALU_DEP_2)
	v_rcp_f32_e32 v22, v20
	v_rcp_f32_e32 v23, v21
	v_div_scale_f32 v25, vcc_lo, v13, v6, v13
	s_waitcnt_depctr 0xfff
	v_fma_f32 v19, -v20, v22, 1.0
	v_fma_f32 v24, -v21, v23, 1.0
	s_delay_alu instid0(VALU_DEP_1) | instskip(NEXT) | instid1(VALU_DEP_1)
	v_fmac_f32_e32 v23, v24, v23
	v_mul_f32_e32 v27, v26, v23
	s_delay_alu instid0(VALU_DEP_1) | instskip(NEXT) | instid1(VALU_DEP_1)
	v_fma_f32 v28, -v21, v27, v26
	v_dual_fmac_f32 v22, v19, v22 :: v_dual_fmac_f32 v27, v28, v23
	s_delay_alu instid0(VALU_DEP_1) | instskip(NEXT) | instid1(VALU_DEP_2)
	v_mul_f32_e32 v24, v25, v22
	v_fma_f32 v21, -v21, v27, v26
	s_delay_alu instid0(VALU_DEP_2) | instskip(NEXT) | instid1(VALU_DEP_1)
	v_fma_f32 v19, -v20, v24, v25
	v_fmac_f32_e32 v24, v19, v22
	ds_load_2addr_stride64_b32 v[18:19], v18 offset0:16 offset1:32
	v_fma_f32 v20, -v20, v24, v25
	s_delay_alu instid0(VALU_DEP_1) | instskip(SKIP_2) | instid1(VALU_DEP_2)
	v_div_fmas_f32 v20, v20, v22, v24
	s_mov_b32 vcc_lo, s1
	v_div_fmas_f32 v21, v21, v23, v27
	v_div_fixup_f32 v6, v20, v6, v13
	s_delay_alu instid0(VALU_DEP_2) | instskip(SKIP_2) | instid1(VALU_DEP_3)
	v_div_fixup_f32 v9, v21, v15, v9
	v_add_nc_u32_e32 v15, 0xfc, v10
	s_waitcnt lgkmcnt(1)
	v_fma_f32 v13, -v6, v16, v17
	v_fma_f32 v7, -v6, v8, v7
	v_mul_f32_e64 v6, v6, -v12
	v_add_nc_u32_e32 v8, -4, v10
	s_waitcnt lgkmcnt(0)
	v_fma_f32 v12, -v9, v19, v13
	v_fma_f32 v7, -v9, v14, v7
	v_mul_f32_e64 v9, v9, -v18
	ds_store_b32 v10, v12 offset:8188
	ds_store_b32 v8, v6
	ds_store_2addr_stride64_b32 v15, v7, v9 offset0:7 offset1:15
.LBB8_2:
	s_or_b32 exec_lo, exec_lo, s2
	v_cmp_gt_u32_e64 s1, 0x80, v0
	s_waitcnt lgkmcnt(0)
	s_barrier
	buffer_gl0_inv
	s_and_saveexec_b32 s3, s1
	s_cbranch_execz .LBB8_4
; %bb.3:
	v_lshl_or_b32 v6, v11, 2, 1
	v_lshlrev_b32_e32 v10, 4, v11
	s_delay_alu instid0(VALU_DEP_2) | instskip(NEXT) | instid1(VALU_DEP_2)
	v_min_u32_e32 v6, 0x1ff, v6
	v_add_nc_u32_e32 v7, 0x400, v10
	v_add_nc_u32_e32 v18, -4, v10
	v_add_nc_u32_e32 v8, 0xc00, v10
	v_add_nc_u32_e32 v14, -12, v10
	v_lshlrev_b32_e32 v16, 2, v6
	ds_load_2addr_b32 v[6:7], v7 offset0:253 offset1:255
	ds_load_b32 v19, v18
	ds_load_2addr_b32 v[8:9], v8 offset0:253 offset1:255
	ds_load_2addr_stride64_b32 v[12:13], v16 offset1:8
	ds_load_b32 v20, v14
	s_waitcnt lgkmcnt(3)
	v_div_scale_f32 v21, null, v6, v6, v19
	s_waitcnt lgkmcnt(1)
	v_div_scale_f32 v22, null, v13, v13, v9
	v_div_scale_f32 v25, vcc_lo, v19, v6, v19
	s_delay_alu instid0(VALU_DEP_3) | instskip(NEXT) | instid1(VALU_DEP_2)
	v_rcp_f32_e32 v23, v21
	v_rcp_f32_e32 v24, v22
	v_div_scale_f32 v26, s2, v9, v13, v9
	s_waitcnt_depctr 0xfff
	v_fma_f32 v14, -v21, v23, 1.0
	v_fma_f32 v15, -v22, v24, 1.0
	s_delay_alu instid0(VALU_DEP_1) | instskip(NEXT) | instid1(VALU_DEP_1)
	v_dual_fmac_f32 v23, v14, v23 :: v_dual_fmac_f32 v24, v15, v24
	v_dual_mul_f32 v27, v25, v23 :: v_dual_add_nc_u32 v14, 0x1c00, v10
	s_delay_alu instid0(VALU_DEP_2) | instskip(SKIP_3) | instid1(VALU_DEP_2)
	v_mul_f32_e32 v28, v26, v24
	ds_load_2addr_b32 v[14:15], v14 offset0:253 offset1:255
	v_fma_f32 v17, -v21, v27, v25
	v_fma_f32 v29, -v22, v28, v26
	v_fmac_f32_e32 v27, v17, v23
	s_delay_alu instid0(VALU_DEP_2) | instskip(SKIP_3) | instid1(VALU_DEP_2)
	v_fmac_f32_e32 v28, v29, v24
	ds_load_2addr_stride64_b32 v[16:17], v16 offset0:16 offset1:32
	v_fma_f32 v21, -v21, v27, v25
	v_fma_f32 v22, -v22, v28, v26
	v_div_fmas_f32 v21, v21, v23, v27
	s_mov_b32 vcc_lo, s2
	s_delay_alu instid0(VALU_DEP_2) | instskip(NEXT) | instid1(VALU_DEP_2)
	v_div_fmas_f32 v22, v22, v24, v28
	v_div_fixup_f32 v6, v21, v6, v19
	s_delay_alu instid0(VALU_DEP_2) | instskip(SKIP_1) | instid1(VALU_DEP_2)
	v_div_fixup_f32 v9, v22, v13, v9
	s_waitcnt lgkmcnt(1)
	v_fma_f32 v13, -v6, v14, v15
	v_fma_f32 v7, -v6, v8, v7
	v_mul_f32_e64 v6, v6, -v20
	v_add_nc_u32_e32 v8, 0xfc, v10
	s_waitcnt lgkmcnt(0)
	v_fma_f32 v13, -v9, v17, v13
	v_fma_f32 v7, -v9, v12, v7
	v_mul_f32_e64 v9, v9, -v16
	ds_store_b32 v10, v13 offset:8188
	ds_store_b32 v18, v6
	ds_store_2addr_stride64_b32 v8, v7, v9 offset0:7 offset1:15
.LBB8_4:
	s_or_b32 exec_lo, exec_lo, s3
	v_cmp_gt_u32_e64 s2, 64, v0
	v_lshlrev_b32_e32 v6, 5, v11
	s_waitcnt lgkmcnt(0)
	s_barrier
	buffer_gl0_inv
	s_and_saveexec_b32 s4, s2
	s_cbranch_execz .LBB8_6
; %bb.5:
	v_lshl_or_b32 v7, v11, 3, 3
	v_add_nc_u32_e32 v8, 0x400, v6
	v_add_nc_u32_e32 v18, -4, v6
	v_add_nc_u32_e32 v10, 0xc00, v6
	v_subrev_nc_u32_e32 v14, 20, v6
	v_min_u32_e32 v9, 0x1ff, v7
	ds_load_2addr_b32 v[7:8], v8 offset0:251 offset1:255
	ds_load_b32 v19, v18
	v_add_nc_u32_e32 v15, 0x1c00, v6
	v_lshlrev_b32_e32 v16, 2, v9
	ds_load_2addr_b32 v[9:10], v10 offset0:251 offset1:255
	ds_load_2addr_stride64_b32 v[12:13], v16 offset1:8
	ds_load_b32 v20, v14
	s_waitcnt lgkmcnt(3)
	v_div_scale_f32 v17, null, v7, v7, v19
	v_div_scale_f32 v24, vcc_lo, v19, v7, v19
	s_delay_alu instid0(VALU_DEP_2) | instskip(SKIP_3) | instid1(VALU_DEP_2)
	v_rcp_f32_e32 v21, v17
	s_waitcnt lgkmcnt(1)
	v_div_scale_f32 v22, null, v13, v13, v10
	v_div_scale_f32 v26, s3, v10, v13, v10
	v_rcp_f32_e32 v23, v22
	s_waitcnt_depctr 0xfff
	v_fma_f32 v14, -v17, v21, 1.0
	s_delay_alu instid0(VALU_DEP_1) | instskip(SKIP_1) | instid1(VALU_DEP_2)
	v_fmac_f32_e32 v21, v14, v21
	v_fma_f32 v14, -v22, v23, 1.0
	v_mul_f32_e32 v25, v24, v21
	s_delay_alu instid0(VALU_DEP_2) | instskip(NEXT) | instid1(VALU_DEP_2)
	v_fmac_f32_e32 v23, v14, v23
	v_fma_f32 v14, -v17, v25, v24
	s_delay_alu instid0(VALU_DEP_2) | instskip(NEXT) | instid1(VALU_DEP_2)
	v_mul_f32_e32 v27, v26, v23
	v_fmac_f32_e32 v25, v14, v21
	ds_load_2addr_b32 v[14:15], v15 offset0:251 offset1:255
	v_fma_f32 v28, -v22, v27, v26
	v_fma_f32 v24, -v17, v25, v24
	ds_load_2addr_stride64_b32 v[16:17], v16 offset0:16 offset1:32
	v_fmac_f32_e32 v27, v28, v23
	v_div_fmas_f32 v21, v24, v21, v25
	s_mov_b32 vcc_lo, s3
	s_delay_alu instid0(VALU_DEP_2) | instskip(NEXT) | instid1(VALU_DEP_2)
	v_fma_f32 v22, -v22, v27, v26
	v_div_fixup_f32 v7, v21, v7, v19
	s_delay_alu instid0(VALU_DEP_2) | instskip(NEXT) | instid1(VALU_DEP_2)
	v_div_fmas_f32 v19, v22, v23, v27
	v_fma_f32 v8, -v7, v9, v8
	s_waitcnt lgkmcnt(1)
	v_fma_f32 v14, -v7, v14, v15
	v_mul_f32_e64 v7, v7, -v20
	v_div_fixup_f32 v10, v19, v13, v10
	v_add_nc_u32_e32 v9, 0xfc, v6
	s_waitcnt lgkmcnt(0)
	s_delay_alu instid0(VALU_DEP_2)
	v_fma_f32 v13, -v10, v17, v14
	v_fma_f32 v8, -v10, v12, v8
	v_mul_f32_e64 v10, v10, -v16
	ds_store_b32 v6, v13 offset:8188
	ds_store_b32 v18, v7
	ds_store_2addr_stride64_b32 v9, v8, v10 offset0:7 offset1:15
.LBB8_6:
	s_or_b32 exec_lo, exec_lo, s4
	s_waitcnt lgkmcnt(0)
	s_barrier
	buffer_gl0_inv
	s_and_saveexec_b32 s3, s2
	s_cbranch_execz .LBB8_8
; %bb.7:
	v_add_nc_u32_e32 v7, 0xfc, v6
	v_add_nc_u32_e32 v9, -4, v6
	ds_load_2addr_stride64_b32 v[7:8], v7 offset0:7 offset1:15
	ds_load_b32 v9, v9
	ds_load_b32 v10, v6 offset:8188
	s_waitcnt lgkmcnt(1)
	ds_store_2addr_stride64_b32 v5, v9, v7 offset0:40 offset1:41
	s_waitcnt lgkmcnt(1)
	ds_store_2addr_stride64_b32 v5, v8, v10 offset0:42 offset1:44
.LBB8_8:
	s_or_b32 exec_lo, exec_lo, s3
	v_or_b32_e32 v8, 0x2800, v5
	v_add_nc_u32_e32 v10, 0x2a00, v5
	v_add_nc_u32_e32 v9, 0x2900, v5
	v_or_b32_e32 v7, 0x2c00, v5
	s_waitcnt lgkmcnt(0)
	s_barrier
	buffer_gl0_inv
                                        ; implicit-def: $vgpr14
                                        ; implicit-def: $vgpr15
                                        ; implicit-def: $vgpr13
                                        ; implicit-def: $vgpr12
	s_and_saveexec_b32 s4, s2
	s_cbranch_execz .LBB8_10
; %bb.9:
	v_max_u32_e32 v12, 1, v0
	v_min_u32_e32 v11, 63, v11
	s_delay_alu instid0(VALU_DEP_2) | instskip(NEXT) | instid1(VALU_DEP_2)
	v_lshlrev_b32_e32 v12, 2, v12
	v_lshlrev_b32_e32 v17, 2, v11
	s_delay_alu instid0(VALU_DEP_2)
	v_add_nc_u32_e32 v15, 0xfc, v12
	ds_load_2addr_stride64_b32 v[11:12], v15 offset0:39 offset1:40
	ds_load_b32 v19, v8
	ds_load_2addr_stride64_b32 v[13:14], v17 offset0:40 offset1:41
	ds_load_b32 v20, v10
	ds_load_b32 v21, v9
	;; [unrolled: 1-line block ×3, first 2 shown]
	s_waitcnt lgkmcnt(4)
	v_div_scale_f32 v18, null, v12, v12, v19
	s_waitcnt lgkmcnt(2)
	v_div_scale_f32 v23, null, v14, v14, v20
	v_div_scale_f32 v27, vcc_lo, v19, v12, v19
	s_delay_alu instid0(VALU_DEP_3) | instskip(NEXT) | instid1(VALU_DEP_2)
	v_rcp_f32_e32 v24, v18
	v_rcp_f32_e32 v25, v23
	v_div_scale_f32 v28, s3, v20, v14, v20
	s_waitcnt_depctr 0xfff
	v_fma_f32 v16, -v18, v24, 1.0
	v_fma_f32 v26, -v23, v25, 1.0
	s_delay_alu instid0(VALU_DEP_1) | instskip(SKIP_2) | instid1(VALU_DEP_1)
	v_dual_fmac_f32 v24, v16, v24 :: v_dual_fmac_f32 v25, v26, v25
	ds_load_2addr_stride64_b32 v[15:16], v15 offset0:41 offset1:43
	v_dual_mul_f32 v26, v27, v24 :: v_dual_mul_f32 v29, v28, v25
	v_fma_f32 v30, -v18, v26, v27
	s_delay_alu instid0(VALU_DEP_2) | instskip(NEXT) | instid1(VALU_DEP_1)
	v_fma_f32 v31, -v23, v29, v28
	v_dual_fmac_f32 v26, v30, v24 :: v_dual_fmac_f32 v29, v31, v25
	s_delay_alu instid0(VALU_DEP_1) | instskip(SKIP_4) | instid1(VALU_DEP_2)
	v_fma_f32 v27, -v18, v26, v27
	ds_load_2addr_stride64_b32 v[17:18], v17 offset0:42 offset1:44
	v_fma_f32 v23, -v23, v29, v28
	v_div_fmas_f32 v24, v27, v24, v26
	s_mov_b32 vcc_lo, s3
	v_div_fmas_f32 v23, v23, v25, v29
	s_delay_alu instid0(VALU_DEP_2) | instskip(NEXT) | instid1(VALU_DEP_2)
	v_div_fixup_f32 v12, v24, v12, v19
	v_div_fixup_f32 v19, v23, v14, v20
	s_waitcnt lgkmcnt(1)
	s_delay_alu instid0(VALU_DEP_2) | instskip(SKIP_2) | instid1(VALU_DEP_3)
	v_fma_f32 v14, -v12, v15, v21
	v_fma_f32 v15, -v12, v16, v22
	v_mul_f32_e64 v12, v12, -v11
	v_fma_f32 v13, -v19, v13, v14
	s_waitcnt lgkmcnt(0)
	s_delay_alu instid0(VALU_DEP_3)
	v_fma_f32 v14, -v19, v18, v15
	v_mul_f32_e64 v15, v19, -v17
.LBB8_10:
	s_or_b32 exec_lo, exec_lo, s4
	s_barrier
	buffer_gl0_inv
	s_and_saveexec_b32 s3, s2
	s_cbranch_execz .LBB8_12
; %bb.11:
	ds_store_b32 v7, v14
	ds_store_b32 v8, v12
	;; [unrolled: 1-line block ×4, first 2 shown]
.LBB8_12:
	s_or_b32 exec_lo, exec_lo, s3
	s_waitcnt lgkmcnt(0)
	s_barrier
	buffer_gl0_inv
	s_and_saveexec_b32 s4, s2
	s_cbranch_execz .LBB8_14
; %bb.13:
	v_max_u32_e32 v11, 2, v0
	v_min_u32_e32 v12, 61, v0
	s_delay_alu instid0(VALU_DEP_2) | instskip(NEXT) | instid1(VALU_DEP_2)
	v_lshlrev_b32_e32 v11, 2, v11
	v_lshlrev_b32_e32 v12, 2, v12
	s_delay_alu instid0(VALU_DEP_2) | instskip(NEXT) | instid1(VALU_DEP_2)
	v_add_nc_u32_e32 v15, 0xf8, v11
	v_add_nc_u32_e32 v17, 8, v12
	ds_load_2addr_stride64_b32 v[11:12], v15 offset0:39 offset1:40
	ds_load_b32 v19, v8
	ds_load_2addr_stride64_b32 v[13:14], v17 offset0:40 offset1:41
	ds_load_b32 v20, v10
	ds_load_b32 v21, v9
	;; [unrolled: 1-line block ×3, first 2 shown]
	s_waitcnt lgkmcnt(4)
	v_div_scale_f32 v18, null, v12, v12, v19
	s_waitcnt lgkmcnt(2)
	v_div_scale_f32 v23, null, v14, v14, v20
	v_div_scale_f32 v27, vcc_lo, v19, v12, v19
	s_delay_alu instid0(VALU_DEP_3) | instskip(NEXT) | instid1(VALU_DEP_2)
	v_rcp_f32_e32 v24, v18
	v_rcp_f32_e32 v25, v23
	v_div_scale_f32 v28, s3, v20, v14, v20
	s_waitcnt_depctr 0xfff
	v_fma_f32 v16, -v18, v24, 1.0
	v_fma_f32 v26, -v23, v25, 1.0
	s_delay_alu instid0(VALU_DEP_1) | instskip(NEXT) | instid1(VALU_DEP_1)
	v_dual_fmac_f32 v24, v16, v24 :: v_dual_fmac_f32 v25, v26, v25
	v_mul_f32_e32 v26, v27, v24
	ds_load_2addr_stride64_b32 v[15:16], v15 offset0:41 offset1:43
	v_fma_f32 v30, -v18, v26, v27
	s_delay_alu instid0(VALU_DEP_1) | instskip(NEXT) | instid1(VALU_DEP_1)
	v_dual_mul_f32 v29, v28, v25 :: v_dual_fmac_f32 v26, v30, v24
	v_fma_f32 v31, -v23, v29, v28
	s_delay_alu instid0(VALU_DEP_2) | instskip(NEXT) | instid1(VALU_DEP_2)
	v_fma_f32 v27, -v18, v26, v27
	v_fmac_f32_e32 v29, v31, v25
	ds_load_2addr_stride64_b32 v[17:18], v17 offset0:42 offset1:44
	v_div_fmas_f32 v24, v27, v24, v26
	v_fma_f32 v23, -v23, v29, v28
	s_mov_b32 vcc_lo, s3
	s_delay_alu instid0(VALU_DEP_2) | instskip(NEXT) | instid1(VALU_DEP_2)
	v_div_fixup_f32 v12, v24, v12, v19
	v_div_fmas_f32 v23, v23, v25, v29
	s_delay_alu instid0(VALU_DEP_1) | instskip(SKIP_1) | instid1(VALU_DEP_3)
	v_div_fixup_f32 v19, v23, v14, v20
	s_waitcnt lgkmcnt(1)
	v_fma_f32 v14, -v12, v15, v21
	v_fma_f32 v15, -v12, v16, v22
	v_mul_f32_e64 v12, v12, -v11
	s_delay_alu instid0(VALU_DEP_3) | instskip(SKIP_1) | instid1(VALU_DEP_3)
	v_fma_f32 v13, -v19, v13, v14
	s_waitcnt lgkmcnt(0)
	v_fma_f32 v14, -v19, v18, v15
	v_mul_f32_e64 v15, v19, -v17
.LBB8_14:
	s_or_b32 exec_lo, exec_lo, s4
	s_barrier
	buffer_gl0_inv
	s_and_saveexec_b32 s3, s2
	s_cbranch_execz .LBB8_16
; %bb.15:
	ds_store_b32 v7, v14
	ds_store_b32 v8, v12
	;; [unrolled: 1-line block ×4, first 2 shown]
.LBB8_16:
	s_or_b32 exec_lo, exec_lo, s3
	s_waitcnt lgkmcnt(0)
	s_barrier
	buffer_gl0_inv
	s_and_saveexec_b32 s4, s2
	s_cbranch_execz .LBB8_18
; %bb.17:
	v_max_u32_e32 v11, 4, v0
	v_min_u32_e32 v12, 59, v0
	s_delay_alu instid0(VALU_DEP_2) | instskip(NEXT) | instid1(VALU_DEP_2)
	v_lshlrev_b32_e32 v11, 2, v11
	v_lshlrev_b32_e32 v12, 2, v12
	s_delay_alu instid0(VALU_DEP_2) | instskip(NEXT) | instid1(VALU_DEP_2)
	v_add_nc_u32_e32 v15, 0xf0, v11
	v_add_nc_u32_e32 v17, 16, v12
	ds_load_2addr_stride64_b32 v[11:12], v15 offset0:39 offset1:40
	ds_load_b32 v19, v8
	ds_load_2addr_stride64_b32 v[13:14], v17 offset0:40 offset1:41
	ds_load_b32 v20, v10
	ds_load_b32 v21, v9
	;; [unrolled: 1-line block ×3, first 2 shown]
	s_waitcnt lgkmcnt(4)
	v_div_scale_f32 v18, null, v12, v12, v19
	s_waitcnt lgkmcnt(2)
	v_div_scale_f32 v23, null, v14, v14, v20
	v_div_scale_f32 v27, vcc_lo, v19, v12, v19
	s_delay_alu instid0(VALU_DEP_3) | instskip(NEXT) | instid1(VALU_DEP_2)
	v_rcp_f32_e32 v24, v18
	v_rcp_f32_e32 v25, v23
	v_div_scale_f32 v28, s3, v20, v14, v20
	s_waitcnt_depctr 0xfff
	v_fma_f32 v16, -v18, v24, 1.0
	v_fma_f32 v26, -v23, v25, 1.0
	s_delay_alu instid0(VALU_DEP_1) | instskip(NEXT) | instid1(VALU_DEP_1)
	v_dual_fmac_f32 v24, v16, v24 :: v_dual_fmac_f32 v25, v26, v25
	v_mul_f32_e32 v26, v27, v24
	ds_load_2addr_stride64_b32 v[15:16], v15 offset0:41 offset1:43
	v_fma_f32 v30, -v18, v26, v27
	s_delay_alu instid0(VALU_DEP_1) | instskip(NEXT) | instid1(VALU_DEP_1)
	v_dual_mul_f32 v29, v28, v25 :: v_dual_fmac_f32 v26, v30, v24
	v_fma_f32 v31, -v23, v29, v28
	s_delay_alu instid0(VALU_DEP_2) | instskip(NEXT) | instid1(VALU_DEP_2)
	v_fma_f32 v27, -v18, v26, v27
	v_fmac_f32_e32 v29, v31, v25
	ds_load_2addr_stride64_b32 v[17:18], v17 offset0:42 offset1:44
	v_div_fmas_f32 v24, v27, v24, v26
	v_fma_f32 v23, -v23, v29, v28
	s_mov_b32 vcc_lo, s3
	s_delay_alu instid0(VALU_DEP_2) | instskip(NEXT) | instid1(VALU_DEP_2)
	v_div_fixup_f32 v12, v24, v12, v19
	v_div_fmas_f32 v23, v23, v25, v29
	s_delay_alu instid0(VALU_DEP_1) | instskip(SKIP_1) | instid1(VALU_DEP_3)
	v_div_fixup_f32 v19, v23, v14, v20
	s_waitcnt lgkmcnt(1)
	v_fma_f32 v14, -v12, v15, v21
	v_fma_f32 v15, -v12, v16, v22
	v_mul_f32_e64 v12, v12, -v11
	s_delay_alu instid0(VALU_DEP_3) | instskip(SKIP_1) | instid1(VALU_DEP_3)
	v_fma_f32 v13, -v19, v13, v14
	s_waitcnt lgkmcnt(0)
	v_fma_f32 v14, -v19, v18, v15
	v_mul_f32_e64 v15, v19, -v17
.LBB8_18:
	s_or_b32 exec_lo, exec_lo, s4
	s_barrier
	buffer_gl0_inv
	s_and_saveexec_b32 s3, s2
	s_cbranch_execz .LBB8_20
; %bb.19:
	ds_store_b32 v7, v14
	ds_store_b32 v8, v12
	;; [unrolled: 1-line block ×4, first 2 shown]
.LBB8_20:
	s_or_b32 exec_lo, exec_lo, s3
	s_waitcnt lgkmcnt(0)
	s_barrier
	buffer_gl0_inv
	s_and_saveexec_b32 s4, s2
	s_cbranch_execz .LBB8_22
; %bb.21:
	v_max_u32_e32 v11, 8, v0
	v_min_u32_e32 v12, 55, v0
	s_delay_alu instid0(VALU_DEP_2) | instskip(NEXT) | instid1(VALU_DEP_2)
	v_lshlrev_b32_e32 v11, 2, v11
	v_lshlrev_b32_e32 v12, 2, v12
	s_delay_alu instid0(VALU_DEP_2) | instskip(NEXT) | instid1(VALU_DEP_2)
	v_add_nc_u32_e32 v15, 0xe0, v11
	v_add_nc_u32_e32 v17, 32, v12
	ds_load_2addr_stride64_b32 v[11:12], v15 offset0:39 offset1:40
	ds_load_b32 v19, v8
	ds_load_2addr_stride64_b32 v[13:14], v17 offset0:40 offset1:41
	ds_load_b32 v20, v10
	ds_load_b32 v21, v9
	ds_load_b32 v22, v7
	s_waitcnt lgkmcnt(4)
	v_div_scale_f32 v18, null, v12, v12, v19
	s_waitcnt lgkmcnt(2)
	v_div_scale_f32 v23, null, v14, v14, v20
	v_div_scale_f32 v27, vcc_lo, v19, v12, v19
	s_delay_alu instid0(VALU_DEP_3) | instskip(NEXT) | instid1(VALU_DEP_2)
	v_rcp_f32_e32 v24, v18
	v_rcp_f32_e32 v25, v23
	v_div_scale_f32 v28, s3, v20, v14, v20
	s_waitcnt_depctr 0xfff
	v_fma_f32 v16, -v18, v24, 1.0
	v_fma_f32 v26, -v23, v25, 1.0
	s_delay_alu instid0(VALU_DEP_1) | instskip(NEXT) | instid1(VALU_DEP_1)
	v_dual_fmac_f32 v24, v16, v24 :: v_dual_fmac_f32 v25, v26, v25
	v_mul_f32_e32 v26, v27, v24
	ds_load_2addr_stride64_b32 v[15:16], v15 offset0:41 offset1:43
	v_fma_f32 v30, -v18, v26, v27
	s_delay_alu instid0(VALU_DEP_1) | instskip(NEXT) | instid1(VALU_DEP_1)
	v_dual_mul_f32 v29, v28, v25 :: v_dual_fmac_f32 v26, v30, v24
	v_fma_f32 v31, -v23, v29, v28
	s_delay_alu instid0(VALU_DEP_2) | instskip(NEXT) | instid1(VALU_DEP_2)
	v_fma_f32 v27, -v18, v26, v27
	v_fmac_f32_e32 v29, v31, v25
	ds_load_2addr_stride64_b32 v[17:18], v17 offset0:42 offset1:44
	v_div_fmas_f32 v24, v27, v24, v26
	v_fma_f32 v23, -v23, v29, v28
	s_mov_b32 vcc_lo, s3
	s_delay_alu instid0(VALU_DEP_2) | instskip(NEXT) | instid1(VALU_DEP_2)
	v_div_fixup_f32 v12, v24, v12, v19
	v_div_fmas_f32 v23, v23, v25, v29
	s_delay_alu instid0(VALU_DEP_1) | instskip(SKIP_1) | instid1(VALU_DEP_3)
	v_div_fixup_f32 v19, v23, v14, v20
	s_waitcnt lgkmcnt(1)
	v_fma_f32 v14, -v12, v15, v21
	v_fma_f32 v15, -v12, v16, v22
	v_mul_f32_e64 v12, v12, -v11
	s_delay_alu instid0(VALU_DEP_3) | instskip(SKIP_1) | instid1(VALU_DEP_3)
	v_fma_f32 v13, -v19, v13, v14
	s_waitcnt lgkmcnt(0)
	v_fma_f32 v14, -v19, v18, v15
	v_mul_f32_e64 v15, v19, -v17
.LBB8_22:
	s_or_b32 exec_lo, exec_lo, s4
	s_barrier
	buffer_gl0_inv
	s_and_saveexec_b32 s3, s2
	s_cbranch_execz .LBB8_24
; %bb.23:
	ds_store_b32 v7, v14
	ds_store_b32 v8, v12
	;; [unrolled: 1-line block ×4, first 2 shown]
.LBB8_24:
	s_or_b32 exec_lo, exec_lo, s3
	s_waitcnt lgkmcnt(0)
	s_barrier
	buffer_gl0_inv
	s_and_saveexec_b32 s4, s2
	s_cbranch_execz .LBB8_26
; %bb.25:
	v_max_u32_e32 v11, 16, v0
	v_min_u32_e32 v12, 47, v0
	s_delay_alu instid0(VALU_DEP_2) | instskip(NEXT) | instid1(VALU_DEP_2)
	v_lshlrev_b32_e32 v11, 2, v11
	v_lshlrev_b32_e32 v12, 2, v12
	s_delay_alu instid0(VALU_DEP_2) | instskip(NEXT) | instid1(VALU_DEP_2)
	v_add_nc_u32_e32 v15, 0xc0, v11
	v_add_nc_u32_e32 v17, 64, v12
	ds_load_2addr_stride64_b32 v[11:12], v15 offset0:39 offset1:40
	ds_load_b32 v19, v8
	ds_load_2addr_stride64_b32 v[13:14], v17 offset0:40 offset1:41
	ds_load_b32 v20, v10
	ds_load_b32 v21, v9
	;; [unrolled: 1-line block ×3, first 2 shown]
	s_waitcnt lgkmcnt(4)
	v_div_scale_f32 v18, null, v12, v12, v19
	s_waitcnt lgkmcnt(2)
	v_div_scale_f32 v23, null, v14, v14, v20
	v_div_scale_f32 v27, vcc_lo, v19, v12, v19
	s_delay_alu instid0(VALU_DEP_3) | instskip(NEXT) | instid1(VALU_DEP_2)
	v_rcp_f32_e32 v24, v18
	v_rcp_f32_e32 v25, v23
	v_div_scale_f32 v28, s3, v20, v14, v20
	s_waitcnt_depctr 0xfff
	v_fma_f32 v16, -v18, v24, 1.0
	v_fma_f32 v26, -v23, v25, 1.0
	s_delay_alu instid0(VALU_DEP_1) | instskip(NEXT) | instid1(VALU_DEP_1)
	v_dual_fmac_f32 v24, v16, v24 :: v_dual_fmac_f32 v25, v26, v25
	v_mul_f32_e32 v26, v27, v24
	ds_load_2addr_stride64_b32 v[15:16], v15 offset0:41 offset1:43
	v_fma_f32 v30, -v18, v26, v27
	s_delay_alu instid0(VALU_DEP_1) | instskip(NEXT) | instid1(VALU_DEP_1)
	v_dual_mul_f32 v29, v28, v25 :: v_dual_fmac_f32 v26, v30, v24
	v_fma_f32 v31, -v23, v29, v28
	s_delay_alu instid0(VALU_DEP_2) | instskip(NEXT) | instid1(VALU_DEP_2)
	v_fma_f32 v27, -v18, v26, v27
	v_fmac_f32_e32 v29, v31, v25
	ds_load_2addr_stride64_b32 v[17:18], v17 offset0:42 offset1:44
	v_div_fmas_f32 v24, v27, v24, v26
	v_fma_f32 v23, -v23, v29, v28
	s_mov_b32 vcc_lo, s3
	s_delay_alu instid0(VALU_DEP_2) | instskip(NEXT) | instid1(VALU_DEP_2)
	v_div_fixup_f32 v12, v24, v12, v19
	v_div_fmas_f32 v23, v23, v25, v29
	s_delay_alu instid0(VALU_DEP_1) | instskip(SKIP_1) | instid1(VALU_DEP_3)
	v_div_fixup_f32 v19, v23, v14, v20
	s_waitcnt lgkmcnt(1)
	v_fma_f32 v14, -v12, v15, v21
	v_fma_f32 v15, -v12, v16, v22
	v_mul_f32_e64 v12, v12, -v11
	s_delay_alu instid0(VALU_DEP_3) | instskip(SKIP_1) | instid1(VALU_DEP_3)
	v_fma_f32 v13, -v19, v13, v14
	s_waitcnt lgkmcnt(0)
	v_fma_f32 v14, -v19, v18, v15
	v_mul_f32_e64 v15, v19, -v17
.LBB8_26:
	s_or_b32 exec_lo, exec_lo, s4
	s_barrier
	buffer_gl0_inv
	s_and_saveexec_b32 s3, s2
	s_cbranch_execz .LBB8_28
; %bb.27:
	ds_store_b32 v7, v14
	ds_store_b32 v8, v12
	;; [unrolled: 1-line block ×4, first 2 shown]
.LBB8_28:
	s_or_b32 exec_lo, exec_lo, s3
	s_delay_alu instid0(SALU_CYCLE_1)
	s_mov_b32 s3, exec_lo
	s_waitcnt lgkmcnt(0)
	s_barrier
	buffer_gl0_inv
	v_cmpx_gt_u32_e32 32, v0
	s_cbranch_execz .LBB8_30
; %bb.29:
	ds_load_b32 v12, v10
	ds_load_b32 v13, v8 offset:128
	ds_load_2addr_b32 v[8:9], v9 offset1:32
	s_waitcnt lgkmcnt(1)
	v_mul_f32_e32 v10, v12, v13
	s_waitcnt lgkmcnt(0)
	s_delay_alu instid0(VALU_DEP_1) | instskip(NEXT) | instid1(VALU_DEP_1)
	v_fma_f32 v14, v9, v8, -v10
	v_div_scale_f32 v15, null, v14, v14, 1.0
	v_div_scale_f32 v17, vcc_lo, 1.0, v14, 1.0
	s_delay_alu instid0(VALU_DEP_2) | instskip(SKIP_2) | instid1(VALU_DEP_1)
	v_rcp_f32_e32 v16, v15
	s_waitcnt_depctr 0xfff
	v_fma_f32 v10, -v15, v16, 1.0
	v_fmac_f32_e32 v16, v10, v16
	ds_load_2addr_b32 v[10:11], v7 offset1:32
	s_waitcnt lgkmcnt(0)
	v_mul_f32_e32 v13, v13, v10
	v_dual_mul_f32 v7, v17, v16 :: v_dual_mul_f32 v12, v12, v11
	s_delay_alu instid0(VALU_DEP_2) | instskip(NEXT) | instid1(VALU_DEP_2)
	v_fma_f32 v8, v8, v11, -v13
	v_fma_f32 v18, -v15, v7, v17
	s_delay_alu instid0(VALU_DEP_3) | instskip(NEXT) | instid1(VALU_DEP_2)
	v_fma_f32 v9, v9, v10, -v12
	v_fmac_f32_e32 v7, v18, v16
	s_delay_alu instid0(VALU_DEP_1) | instskip(NEXT) | instid1(VALU_DEP_1)
	v_fma_f32 v15, -v15, v7, v17
	v_div_fmas_f32 v7, v15, v16, v7
	s_delay_alu instid0(VALU_DEP_1) | instskip(NEXT) | instid1(VALU_DEP_1)
	v_div_fixup_f32 v7, v7, v14, 1.0
	v_mul_f32_e32 v9, v7, v9
	v_dual_mul_f32 v7, v7, v8 :: v_dual_add_nc_u32 v8, 0x2800, v5
	ds_store_2addr_b32 v8, v9, v7 offset0:192 offset1:224
.LBB8_30:
	s_or_b32 exec_lo, exec_lo, s3
	s_waitcnt lgkmcnt(0)
	s_barrier
	buffer_gl0_inv
	s_and_saveexec_b32 s3, s2
	s_cbranch_execz .LBB8_32
; %bb.31:
	ds_load_b32 v7, v5 offset:11008
	s_waitcnt lgkmcnt(0)
	ds_store_b32 v6, v7 offset:6140
.LBB8_32:
	s_or_b32 exec_lo, exec_lo, s3
	s_waitcnt lgkmcnt(0)
	s_barrier
	buffer_gl0_inv
	s_and_saveexec_b32 s3, s2
	s_cbranch_execz .LBB8_38
; %bb.33:
	v_lshlrev_b32_e32 v6, 3, v0
	s_mov_b32 s2, exec_lo
                                        ; implicit-def: $vgpr7
	s_delay_alu instid0(VALU_DEP_1)
	v_lshlrev_b32_e32 v6, 2, v6
	v_cmpx_ne_u32_e32 0, v0
	s_xor_b32 s2, exec_lo, s2
	s_cbranch_execz .LBB8_35
; %bb.34:
	ds_load_b32 v7, v6 offset:12
	ds_load_b32 v8, v6 offset:8204
	;; [unrolled: 1-line block ×3, first 2 shown]
	s_waitcnt lgkmcnt(0)
	v_fma_f32 v7, -v7, v9, v8
.LBB8_35:
	s_and_not1_saveexec_b32 s2, s2
	s_cbranch_execz .LBB8_37
; %bb.36:
	ds_load_b32 v7, v6 offset:8204
.LBB8_37:
	s_or_b32 exec_lo, exec_lo, s2
	v_add_nc_u32_e32 v8, 12, v6
	ds_load_b32 v10, v6 offset:6172
	ds_load_2addr_stride64_b32 v[8:9], v8 offset0:8 offset1:16
	s_waitcnt lgkmcnt(0)
	v_fma_f32 v7, -v9, v10, v7
	s_delay_alu instid0(VALU_DEP_1) | instskip(NEXT) | instid1(VALU_DEP_1)
	v_div_scale_f32 v9, null, v8, v8, v7
	v_rcp_f32_e32 v10, v9
	s_waitcnt_depctr 0xfff
	v_fma_f32 v11, -v9, v10, 1.0
	s_delay_alu instid0(VALU_DEP_1) | instskip(SKIP_1) | instid1(VALU_DEP_1)
	v_fmac_f32_e32 v10, v11, v10
	v_div_scale_f32 v11, vcc_lo, v7, v8, v7
	v_mul_f32_e32 v12, v11, v10
	s_delay_alu instid0(VALU_DEP_1) | instskip(NEXT) | instid1(VALU_DEP_1)
	v_fma_f32 v13, -v9, v12, v11
	v_fmac_f32_e32 v12, v13, v10
	s_delay_alu instid0(VALU_DEP_1) | instskip(NEXT) | instid1(VALU_DEP_1)
	v_fma_f32 v9, -v9, v12, v11
	v_div_fmas_f32 v9, v9, v10, v12
	s_delay_alu instid0(VALU_DEP_1)
	v_div_fixup_f32 v7, v9, v8, v7
	ds_store_b32 v6, v7 offset:6156
.LBB8_38:
	s_or_b32 exec_lo, exec_lo, s3
	s_waitcnt lgkmcnt(0)
	s_barrier
	buffer_gl0_inv
	s_and_saveexec_b32 s2, s1
	s_cbranch_execz .LBB8_44
; %bb.39:
	v_lshlrev_b32_e32 v6, 2, v5
	s_mov_b32 s1, exec_lo
                                        ; implicit-def: $vgpr7
	v_cmpx_ne_u32_e32 0, v0
	s_xor_b32 s1, exec_lo, s1
	s_cbranch_execz .LBB8_41
; %bb.40:
	ds_load_b32 v7, v6 offset:4
	ds_load_b32 v8, v6 offset:8196
	;; [unrolled: 1-line block ×3, first 2 shown]
	s_waitcnt lgkmcnt(0)
	v_fma_f32 v7, -v7, v9, v8
.LBB8_41:
	s_and_not1_saveexec_b32 s1, s1
	s_cbranch_execz .LBB8_43
; %bb.42:
	ds_load_b32 v7, v6 offset:8196
.LBB8_43:
	s_or_b32 exec_lo, exec_lo, s1
	v_add_nc_u32_e32 v8, 4, v6
	ds_load_b32 v10, v6 offset:6156
	ds_load_2addr_stride64_b32 v[8:9], v8 offset0:8 offset1:16
	s_waitcnt lgkmcnt(0)
	v_fma_f32 v7, -v9, v10, v7
	s_delay_alu instid0(VALU_DEP_1) | instskip(NEXT) | instid1(VALU_DEP_1)
	v_div_scale_f32 v9, null, v8, v8, v7
	v_rcp_f32_e32 v10, v9
	s_waitcnt_depctr 0xfff
	v_fma_f32 v11, -v9, v10, 1.0
	s_delay_alu instid0(VALU_DEP_1) | instskip(SKIP_1) | instid1(VALU_DEP_1)
	v_fmac_f32_e32 v10, v11, v10
	v_div_scale_f32 v11, vcc_lo, v7, v8, v7
	v_mul_f32_e32 v12, v11, v10
	s_delay_alu instid0(VALU_DEP_1) | instskip(NEXT) | instid1(VALU_DEP_1)
	v_fma_f32 v13, -v9, v12, v11
	v_fmac_f32_e32 v12, v13, v10
	s_delay_alu instid0(VALU_DEP_1) | instskip(NEXT) | instid1(VALU_DEP_1)
	v_fma_f32 v9, -v9, v12, v11
	v_div_fmas_f32 v9, v9, v10, v12
	s_delay_alu instid0(VALU_DEP_1)
	v_div_fixup_f32 v7, v9, v8, v7
	ds_store_b32 v6, v7 offset:6148
.LBB8_44:
	s_or_b32 exec_lo, exec_lo, s2
	s_waitcnt lgkmcnt(0)
	s_barrier
	buffer_gl0_inv
	s_and_saveexec_b32 s1, s0
	s_cbranch_execz .LBB8_50
; %bb.45:
	v_lshlrev_b32_e32 v6, 1, v0
	v_cmp_ne_u32_e32 vcc_lo, 0, v0
	s_delay_alu instid0(VALU_DEP_2) | instskip(SKIP_1) | instid1(SALU_CYCLE_1)
	v_lshlrev_b32_e32 v0, 2, v6
                                        ; implicit-def: $vgpr6
	s_and_saveexec_b32 s0, vcc_lo
	s_xor_b32 s0, exec_lo, s0
	s_cbranch_execz .LBB8_47
; %bb.46:
	ds_load_b32 v6, v0
	ds_load_b32 v7, v0 offset:8192
	ds_load_b32 v8, v0 offset:6140
	s_waitcnt lgkmcnt(0)
	v_fma_f32 v6, -v6, v8, v7
.LBB8_47:
	s_and_not1_saveexec_b32 s0, s0
	s_cbranch_execz .LBB8_49
; %bb.48:
	ds_load_b32 v6, v0 offset:8192
.LBB8_49:
	s_or_b32 exec_lo, exec_lo, s0
	ds_load_2addr_stride64_b32 v[7:8], v0 offset0:8 offset1:16
	ds_load_b32 v9, v0 offset:6148
	s_waitcnt lgkmcnt(0)
	v_fma_f32 v6, -v8, v9, v6
	s_delay_alu instid0(VALU_DEP_1) | instskip(NEXT) | instid1(VALU_DEP_1)
	v_div_scale_f32 v8, null, v7, v7, v6
	v_rcp_f32_e32 v9, v8
	s_waitcnt_depctr 0xfff
	v_fma_f32 v10, -v8, v9, 1.0
	s_delay_alu instid0(VALU_DEP_1) | instskip(SKIP_1) | instid1(VALU_DEP_1)
	v_fmac_f32_e32 v9, v10, v9
	v_div_scale_f32 v10, vcc_lo, v6, v7, v6
	v_mul_f32_e32 v11, v10, v9
	s_delay_alu instid0(VALU_DEP_1) | instskip(NEXT) | instid1(VALU_DEP_1)
	v_fma_f32 v12, -v8, v11, v10
	v_fmac_f32_e32 v11, v12, v9
	s_delay_alu instid0(VALU_DEP_1) | instskip(NEXT) | instid1(VALU_DEP_1)
	v_fma_f32 v8, -v8, v11, v10
	v_div_fmas_f32 v8, v8, v9, v11
	s_delay_alu instid0(VALU_DEP_1)
	v_div_fixup_f32 v6, v8, v7, v6
	ds_store_b32 v0, v6 offset:6144
.LBB8_50:
	s_or_b32 exec_lo, exec_lo, s1
	s_waitcnt lgkmcnt(0)
	s_barrier
	buffer_gl0_inv
	ds_load_2addr_stride64_b32 v[5:6], v5 offset0:24 offset1:28
	s_waitcnt lgkmcnt(0)
	s_clause 0x1
	global_store_b32 v[1:2], v5, off
	global_store_b32 v[3:4], v6, off
	s_nop 0
	s_sendmsg sendmsg(MSG_DEALLOC_VGPRS)
	s_endpgm
	.section	.rodata,"a",@progbits
	.p2align	6, 0x0
	.amdhsa_kernel _ZN9rocsparseL51gtsv_nopivot_strided_batch_crpcr_pow2_shared_kernelILj256ELj64EfEEviiiPKT1_S3_S3_PS1_
		.amdhsa_group_segment_fixed_size 11520
		.amdhsa_private_segment_fixed_size 0
		.amdhsa_kernarg_size 48
		.amdhsa_user_sgpr_count 15
		.amdhsa_user_sgpr_dispatch_ptr 0
		.amdhsa_user_sgpr_queue_ptr 0
		.amdhsa_user_sgpr_kernarg_segment_ptr 1
		.amdhsa_user_sgpr_dispatch_id 0
		.amdhsa_user_sgpr_private_segment_size 0
		.amdhsa_wavefront_size32 1
		.amdhsa_uses_dynamic_stack 0
		.amdhsa_enable_private_segment 0
		.amdhsa_system_sgpr_workgroup_id_x 1
		.amdhsa_system_sgpr_workgroup_id_y 0
		.amdhsa_system_sgpr_workgroup_id_z 0
		.amdhsa_system_sgpr_workgroup_info 0
		.amdhsa_system_vgpr_workitem_id 0
		.amdhsa_next_free_vgpr 32
		.amdhsa_next_free_sgpr 16
		.amdhsa_reserve_vcc 1
		.amdhsa_float_round_mode_32 0
		.amdhsa_float_round_mode_16_64 0
		.amdhsa_float_denorm_mode_32 3
		.amdhsa_float_denorm_mode_16_64 3
		.amdhsa_dx10_clamp 1
		.amdhsa_ieee_mode 1
		.amdhsa_fp16_overflow 0
		.amdhsa_workgroup_processor_mode 1
		.amdhsa_memory_ordered 1
		.amdhsa_forward_progress 0
		.amdhsa_shared_vgpr_count 0
		.amdhsa_exception_fp_ieee_invalid_op 0
		.amdhsa_exception_fp_denorm_src 0
		.amdhsa_exception_fp_ieee_div_zero 0
		.amdhsa_exception_fp_ieee_overflow 0
		.amdhsa_exception_fp_ieee_underflow 0
		.amdhsa_exception_fp_ieee_inexact 0
		.amdhsa_exception_int_div_zero 0
	.end_amdhsa_kernel
	.section	.text._ZN9rocsparseL51gtsv_nopivot_strided_batch_crpcr_pow2_shared_kernelILj256ELj64EfEEviiiPKT1_S3_S3_PS1_,"axG",@progbits,_ZN9rocsparseL51gtsv_nopivot_strided_batch_crpcr_pow2_shared_kernelILj256ELj64EfEEviiiPKT1_S3_S3_PS1_,comdat
.Lfunc_end8:
	.size	_ZN9rocsparseL51gtsv_nopivot_strided_batch_crpcr_pow2_shared_kernelILj256ELj64EfEEviiiPKT1_S3_S3_PS1_, .Lfunc_end8-_ZN9rocsparseL51gtsv_nopivot_strided_batch_crpcr_pow2_shared_kernelILj256ELj64EfEEviiiPKT1_S3_S3_PS1_
                                        ; -- End function
	.section	.AMDGPU.csdata,"",@progbits
; Kernel info:
; codeLenInByte = 4896
; NumSgprs: 18
; NumVgprs: 32
; ScratchSize: 0
; MemoryBound: 0
; FloatMode: 240
; IeeeMode: 1
; LDSByteSize: 11520 bytes/workgroup (compile time only)
; SGPRBlocks: 2
; VGPRBlocks: 3
; NumSGPRsForWavesPerEU: 18
; NumVGPRsForWavesPerEU: 32
; Occupancy: 16
; WaveLimiterHint : 0
; COMPUTE_PGM_RSRC2:SCRATCH_EN: 0
; COMPUTE_PGM_RSRC2:USER_SGPR: 15
; COMPUTE_PGM_RSRC2:TRAP_HANDLER: 0
; COMPUTE_PGM_RSRC2:TGID_X_EN: 1
; COMPUTE_PGM_RSRC2:TGID_Y_EN: 0
; COMPUTE_PGM_RSRC2:TGID_Z_EN: 0
; COMPUTE_PGM_RSRC2:TIDIG_COMP_CNT: 0
	.section	.text._ZN9rocsparseL44gtsv_nopivot_strided_batch_pcr_shared_kernelILj4EfEEviiiPKT0_S3_S3_PS1_,"axG",@progbits,_ZN9rocsparseL44gtsv_nopivot_strided_batch_pcr_shared_kernelILj4EfEEviiiPKT0_S3_S3_PS1_,comdat
	.globl	_ZN9rocsparseL44gtsv_nopivot_strided_batch_pcr_shared_kernelILj4EfEEviiiPKT0_S3_S3_PS1_ ; -- Begin function _ZN9rocsparseL44gtsv_nopivot_strided_batch_pcr_shared_kernelILj4EfEEviiiPKT0_S3_S3_PS1_
	.p2align	8
	.type	_ZN9rocsparseL44gtsv_nopivot_strided_batch_pcr_shared_kernelILj4EfEEviiiPKT0_S3_S3_PS1_,@function
_ZN9rocsparseL44gtsv_nopivot_strided_batch_pcr_shared_kernelILj4EfEEviiiPKT0_S3_S3_PS1_: ; @_ZN9rocsparseL44gtsv_nopivot_strided_batch_pcr_shared_kernelILj4EfEEviiiPKT0_S3_S3_PS1_
; %bb.0:
	s_clause 0x1
	s_load_b32 s2, s[0:1], 0x8
	s_load_b32 s3, s[0:1], 0x0
	v_dual_mov_b32 v4, 0 :: v_dual_mov_b32 v5, 0
	s_waitcnt lgkmcnt(0)
	v_mad_u64_u32 v[1:2], null, s15, s2, v[0:1]
	v_cmp_gt_i32_e64 s2, s3, v0
	s_delay_alu instid0(VALU_DEP_2) | instskip(NEXT) | instid1(VALU_DEP_2)
	v_ashrrev_i32_e32 v2, 31, v1
	s_and_saveexec_b32 s4, s2
	s_cbranch_execz .LBB9_2
; %bb.1:
	s_load_b64 s[6:7], s[0:1], 0x10
	s_delay_alu instid0(VALU_DEP_1) | instskip(SKIP_1) | instid1(VALU_DEP_1)
	v_lshlrev_b64 v[5:6], 2, v[1:2]
	s_waitcnt lgkmcnt(0)
	v_add_co_u32 v5, vcc_lo, s6, v5
	s_delay_alu instid0(VALU_DEP_2)
	v_add_co_ci_u32_e32 v6, vcc_lo, s7, v6, vcc_lo
	global_load_b32 v5, v[5:6], off
.LBB9_2:
	s_or_b32 exec_lo, exec_lo, s4
	v_lshlrev_b32_e32 v3, 2, v0
	s_waitcnt vmcnt(0)
	ds_store_b32 v3, v5
	s_and_saveexec_b32 s4, s2
	s_cbranch_execz .LBB9_4
; %bb.3:
	s_load_b64 s[6:7], s[0:1], 0x18
	v_lshlrev_b64 v[4:5], 2, v[1:2]
	s_waitcnt lgkmcnt(0)
	s_delay_alu instid0(VALU_DEP_1) | instskip(NEXT) | instid1(VALU_DEP_2)
	v_add_co_u32 v4, vcc_lo, s6, v4
	v_add_co_ci_u32_e32 v5, vcc_lo, s7, v5, vcc_lo
	global_load_b32 v4, v[4:5], off
.LBB9_4:
	s_or_b32 exec_lo, exec_lo, s4
	s_load_b64 s[4:5], s[0:1], 0x28
	v_dual_mov_b32 v6, 0 :: v_dual_mov_b32 v7, 0
	s_waitcnt vmcnt(0)
	ds_store_b32 v3, v4 offset:16
	s_and_saveexec_b32 s6, s2
	s_cbranch_execz .LBB9_6
; %bb.5:
	s_load_b64 s[0:1], s[0:1], 0x20
	v_lshlrev_b64 v[4:5], 2, v[1:2]
	s_waitcnt lgkmcnt(0)
	s_delay_alu instid0(VALU_DEP_1) | instskip(NEXT) | instid1(VALU_DEP_2)
	v_add_co_u32 v4, vcc_lo, s0, v4
	v_add_co_ci_u32_e32 v5, vcc_lo, s1, v5, vcc_lo
	global_load_b32 v7, v[4:5], off
.LBB9_6:
	s_or_b32 exec_lo, exec_lo, s6
	v_or_b32_e32 v4, 16, v3
	v_or_b32_e32 v5, 32, v3
	s_waitcnt vmcnt(0)
	ds_store_b32 v3, v7 offset:32
	s_and_saveexec_b32 s0, s2
	s_cbranch_execz .LBB9_8
; %bb.7:
	v_lshlrev_b64 v[6:7], 2, v[1:2]
	s_waitcnt lgkmcnt(0)
	s_delay_alu instid0(VALU_DEP_1) | instskip(NEXT) | instid1(VALU_DEP_2)
	v_add_co_u32 v6, vcc_lo, s4, v6
	v_add_co_ci_u32_e32 v7, vcc_lo, s5, v7, vcc_lo
	global_load_b32 v6, v[6:7], off
.LBB9_8:
	s_or_b32 exec_lo, exec_lo, s0
	v_add_nc_u32_e32 v7, 1, v0
	s_add_i32 s0, s3, -1
	v_max_u32_e32 v8, 1, v0
	s_waitcnt vmcnt(0)
	ds_store_b32 v3, v6 offset:64
	s_waitcnt lgkmcnt(0)
	v_cmp_gt_i32_e32 vcc_lo, s3, v7
	; wave barrier
	buffer_gl0_inv
	v_dual_cndmask_b32 v7, s0, v7 :: v_dual_lshlrev_b32 v10, 2, v8
	s_delay_alu instid0(VALU_DEP_1)
	v_lshlrev_b32_e32 v11, 2, v7
	ds_load_b32 v12, v3
	ds_load_2addr_b32 v[6:7], v10 offset0:3 offset1:7
	ds_load_2addr_b32 v[8:9], v11 offset1:4
	ds_load_b32 v13, v5
	s_waitcnt lgkmcnt(2)
	v_div_scale_f32 v17, null, v6, v6, v12
	s_waitcnt lgkmcnt(0)
	v_div_scale_f32 v18, null, v9, v9, v13
	v_div_scale_f32 v23, vcc_lo, v12, v6, v12
	s_delay_alu instid0(VALU_DEP_3) | instskip(NEXT) | instid1(VALU_DEP_2)
	v_rcp_f32_e32 v19, v17
	v_rcp_f32_e32 v20, v18
	s_waitcnt_depctr 0xfff
	v_fma_f32 v21, -v17, v19, 1.0
	v_add_nc_u32_e32 v14, -4, v10
	v_fma_f32 v22, -v18, v20, 1.0
	s_delay_alu instid0(VALU_DEP_3) | instskip(SKIP_1) | instid1(VALU_DEP_3)
	v_fmac_f32_e32 v19, v21, v19
	v_div_scale_f32 v21, s0, v13, v9, v13
	v_fmac_f32_e32 v20, v22, v20
	ds_load_b32 v15, v4
	ds_load_b32 v14, v14
	ds_load_b32 v16, v3 offset:64
	v_mul_f32_e32 v22, v23, v19
	ds_load_b32 v27, v10 offset:60
	ds_load_2addr_b32 v[10:11], v11 offset0:8 offset1:16
	v_mul_f32_e32 v24, v21, v20
	s_waitcnt lgkmcnt(0)
	v_fma_f32 v25, -v17, v22, v23
	; wave barrier
	buffer_gl0_inv
	v_fma_f32 v26, -v18, v24, v21
	v_fmac_f32_e32 v22, v25, v19
	s_delay_alu instid0(VALU_DEP_2) | instskip(NEXT) | instid1(VALU_DEP_2)
	v_fmac_f32_e32 v24, v26, v20
	v_fma_f32 v17, -v17, v22, v23
	s_delay_alu instid0(VALU_DEP_2) | instskip(NEXT) | instid1(VALU_DEP_2)
	v_fma_f32 v18, -v18, v24, v21
	v_div_fmas_f32 v17, v17, v19, v22
	s_mov_b32 vcc_lo, s0
	s_mov_b32 s0, exec_lo
	s_delay_alu instid0(VALU_DEP_2) | instskip(NEXT) | instid1(VALU_DEP_2)
	v_div_fmas_f32 v18, v18, v20, v24
	v_div_fixup_f32 v6, v17, v6, v12
	s_delay_alu instid0(VALU_DEP_2) | instskip(NEXT) | instid1(VALU_DEP_2)
	v_div_fixup_f32 v9, v18, v9, v13
	v_fma_f32 v12, -v6, v27, v16
	v_fma_f32 v7, -v6, v7, v15
	v_mul_f32_e64 v6, v6, -v14
	s_delay_alu instid0(VALU_DEP_3) | instskip(NEXT) | instid1(VALU_DEP_3)
	v_fma_f32 v11, -v9, v11, v12
	v_fma_f32 v7, -v9, v8, v7
	v_mul_f32_e64 v8, v9, -v10
	ds_store_b32 v3, v11 offset:64
	ds_store_b32 v3, v6
	ds_store_b32 v4, v7
	;; [unrolled: 1-line block ×3, first 2 shown]
	s_waitcnt vmcnt(0) lgkmcnt(0)
	s_waitcnt_vscnt null, 0x0
	; wave barrier
	s_waitcnt lgkmcnt(0)
	buffer_gl0_inv
	v_cmpx_gt_u32_e32 2, v0
	s_cbranch_execz .LBB9_14
; %bb.9:
	v_or_b32_e32 v6, 2, v0
	v_or_b32_e32 v7, 64, v3
	s_mov_b32 s1, exec_lo
                                        ; implicit-def: $vgpr8
	s_delay_alu instid0(VALU_DEP_2)
	v_cmpx_le_i32_e64 s3, v6
	s_xor_b32 s1, exec_lo, s1
	s_cbranch_execz .LBB9_11
; %bb.10:
	ds_load_b32 v5, v7
	ds_load_b32 v4, v4
	s_waitcnt lgkmcnt(0)
	v_div_scale_f32 v6, null, v4, v4, v5
	s_delay_alu instid0(VALU_DEP_1) | instskip(SKIP_2) | instid1(VALU_DEP_1)
	v_rcp_f32_e32 v7, v6
	s_waitcnt_depctr 0xfff
	v_fma_f32 v8, -v6, v7, 1.0
	v_fmac_f32_e32 v7, v8, v7
	v_div_scale_f32 v8, vcc_lo, v5, v4, v5
	s_delay_alu instid0(VALU_DEP_1) | instskip(NEXT) | instid1(VALU_DEP_1)
	v_mul_f32_e32 v9, v8, v7
	v_fma_f32 v10, -v6, v9, v8
	s_delay_alu instid0(VALU_DEP_1) | instskip(NEXT) | instid1(VALU_DEP_1)
	v_fmac_f32_e32 v9, v10, v7
	v_fma_f32 v6, -v6, v9, v8
	s_delay_alu instid0(VALU_DEP_1) | instskip(NEXT) | instid1(VALU_DEP_1)
	v_div_fmas_f32 v6, v6, v7, v9
                                        ; implicit-def: $vgpr7
	v_div_fixup_f32 v8, v6, v4, v5
                                        ; implicit-def: $vgpr4
                                        ; implicit-def: $vgpr5
                                        ; implicit-def: $vgpr6
.LBB9_11:
	s_and_not1_saveexec_b32 s1, s1
	s_cbranch_execz .LBB9_13
; %bb.12:
	ds_load_b32 v0, v5
	ds_load_b32 v9, v3 offset:8
	ds_load_2addr_b32 v[4:5], v4 offset1:2
	s_waitcnt lgkmcnt(1)
	v_mul_f32_e32 v8, v0, v9
	s_waitcnt lgkmcnt(0)
	s_delay_alu instid0(VALU_DEP_1) | instskip(NEXT) | instid1(VALU_DEP_1)
	v_fma_f32 v10, v5, v4, -v8
	v_div_scale_f32 v11, null, v10, v10, 1.0
	v_div_scale_f32 v13, vcc_lo, 1.0, v10, 1.0
	s_delay_alu instid0(VALU_DEP_2) | instskip(SKIP_2) | instid1(VALU_DEP_1)
	v_rcp_f32_e32 v12, v11
	s_waitcnt_depctr 0xfff
	v_fma_f32 v8, -v11, v12, 1.0
	v_fmac_f32_e32 v12, v8, v12
	ds_load_2addr_b32 v[7:8], v7 offset1:2
	v_mul_f32_e32 v14, v13, v12
	s_delay_alu instid0(VALU_DEP_1) | instskip(NEXT) | instid1(VALU_DEP_1)
	v_fma_f32 v15, -v11, v14, v13
	v_fmac_f32_e32 v14, v15, v12
	s_delay_alu instid0(VALU_DEP_1) | instskip(SKIP_2) | instid1(VALU_DEP_2)
	v_fma_f32 v11, -v11, v14, v13
	s_waitcnt lgkmcnt(0)
	v_dual_mul_f32 v9, v9, v7 :: v_dual_mul_f32 v0, v0, v8
	v_div_fmas_f32 v11, v11, v12, v14
	s_delay_alu instid0(VALU_DEP_2) | instskip(NEXT) | instid1(VALU_DEP_3)
	v_fma_f32 v4, v4, v8, -v9
	v_fma_f32 v0, v5, v7, -v0
	s_delay_alu instid0(VALU_DEP_3) | instskip(NEXT) | instid1(VALU_DEP_1)
	v_div_fixup_f32 v5, v11, v10, 1.0
	v_dual_mul_f32 v7, v5, v0 :: v_dual_mov_b32 v0, v6
	s_delay_alu instid0(VALU_DEP_4)
	v_mul_f32_e32 v8, v5, v4
	ds_store_b32 v3, v7 offset:48
.LBB9_13:
	s_or_b32 exec_lo, exec_lo, s1
	v_lshlrev_b32_e32 v0, 2, v0
	ds_store_b32 v0, v8 offset:48
.LBB9_14:
	s_or_b32 exec_lo, exec_lo, s0
	s_waitcnt vmcnt(0) lgkmcnt(0)
	s_waitcnt_vscnt null, 0x0
	; wave barrier
	s_waitcnt lgkmcnt(0)
	buffer_gl0_inv
	s_and_saveexec_b32 s0, s2
	s_cbranch_execz .LBB9_16
; %bb.15:
	ds_load_b32 v3, v3 offset:48
	v_lshlrev_b64 v[0:1], 2, v[1:2]
	s_delay_alu instid0(VALU_DEP_1) | instskip(NEXT) | instid1(VALU_DEP_2)
	v_add_co_u32 v0, vcc_lo, s4, v0
	v_add_co_ci_u32_e32 v1, vcc_lo, s5, v1, vcc_lo
	s_waitcnt lgkmcnt(0)
	global_store_b32 v[0:1], v3, off
.LBB9_16:
	s_nop 0
	s_sendmsg sendmsg(MSG_DEALLOC_VGPRS)
	s_endpgm
	.section	.rodata,"a",@progbits
	.p2align	6, 0x0
	.amdhsa_kernel _ZN9rocsparseL44gtsv_nopivot_strided_batch_pcr_shared_kernelILj4EfEEviiiPKT0_S3_S3_PS1_
		.amdhsa_group_segment_fixed_size 80
		.amdhsa_private_segment_fixed_size 0
		.amdhsa_kernarg_size 48
		.amdhsa_user_sgpr_count 15
		.amdhsa_user_sgpr_dispatch_ptr 0
		.amdhsa_user_sgpr_queue_ptr 0
		.amdhsa_user_sgpr_kernarg_segment_ptr 1
		.amdhsa_user_sgpr_dispatch_id 0
		.amdhsa_user_sgpr_private_segment_size 0
		.amdhsa_wavefront_size32 1
		.amdhsa_uses_dynamic_stack 0
		.amdhsa_enable_private_segment 0
		.amdhsa_system_sgpr_workgroup_id_x 1
		.amdhsa_system_sgpr_workgroup_id_y 0
		.amdhsa_system_sgpr_workgroup_id_z 0
		.amdhsa_system_sgpr_workgroup_info 0
		.amdhsa_system_vgpr_workitem_id 0
		.amdhsa_next_free_vgpr 28
		.amdhsa_next_free_sgpr 16
		.amdhsa_reserve_vcc 1
		.amdhsa_float_round_mode_32 0
		.amdhsa_float_round_mode_16_64 0
		.amdhsa_float_denorm_mode_32 3
		.amdhsa_float_denorm_mode_16_64 3
		.amdhsa_dx10_clamp 1
		.amdhsa_ieee_mode 1
		.amdhsa_fp16_overflow 0
		.amdhsa_workgroup_processor_mode 1
		.amdhsa_memory_ordered 1
		.amdhsa_forward_progress 0
		.amdhsa_shared_vgpr_count 0
		.amdhsa_exception_fp_ieee_invalid_op 0
		.amdhsa_exception_fp_denorm_src 0
		.amdhsa_exception_fp_ieee_div_zero 0
		.amdhsa_exception_fp_ieee_overflow 0
		.amdhsa_exception_fp_ieee_underflow 0
		.amdhsa_exception_fp_ieee_inexact 0
		.amdhsa_exception_int_div_zero 0
	.end_amdhsa_kernel
	.section	.text._ZN9rocsparseL44gtsv_nopivot_strided_batch_pcr_shared_kernelILj4EfEEviiiPKT0_S3_S3_PS1_,"axG",@progbits,_ZN9rocsparseL44gtsv_nopivot_strided_batch_pcr_shared_kernelILj4EfEEviiiPKT0_S3_S3_PS1_,comdat
.Lfunc_end9:
	.size	_ZN9rocsparseL44gtsv_nopivot_strided_batch_pcr_shared_kernelILj4EfEEviiiPKT0_S3_S3_PS1_, .Lfunc_end9-_ZN9rocsparseL44gtsv_nopivot_strided_batch_pcr_shared_kernelILj4EfEEviiiPKT0_S3_S3_PS1_
                                        ; -- End function
	.section	.AMDGPU.csdata,"",@progbits
; Kernel info:
; codeLenInByte = 1244
; NumSgprs: 18
; NumVgprs: 28
; ScratchSize: 0
; MemoryBound: 0
; FloatMode: 240
; IeeeMode: 1
; LDSByteSize: 80 bytes/workgroup (compile time only)
; SGPRBlocks: 2
; VGPRBlocks: 3
; NumSGPRsForWavesPerEU: 18
; NumVGPRsForWavesPerEU: 28
; Occupancy: 16
; WaveLimiterHint : 0
; COMPUTE_PGM_RSRC2:SCRATCH_EN: 0
; COMPUTE_PGM_RSRC2:USER_SGPR: 15
; COMPUTE_PGM_RSRC2:TRAP_HANDLER: 0
; COMPUTE_PGM_RSRC2:TGID_X_EN: 1
; COMPUTE_PGM_RSRC2:TGID_Y_EN: 0
; COMPUTE_PGM_RSRC2:TGID_Z_EN: 0
; COMPUTE_PGM_RSRC2:TIDIG_COMP_CNT: 0
	.section	.text._ZN9rocsparseL44gtsv_nopivot_strided_batch_pcr_shared_kernelILj8EfEEviiiPKT0_S3_S3_PS1_,"axG",@progbits,_ZN9rocsparseL44gtsv_nopivot_strided_batch_pcr_shared_kernelILj8EfEEviiiPKT0_S3_S3_PS1_,comdat
	.globl	_ZN9rocsparseL44gtsv_nopivot_strided_batch_pcr_shared_kernelILj8EfEEviiiPKT0_S3_S3_PS1_ ; -- Begin function _ZN9rocsparseL44gtsv_nopivot_strided_batch_pcr_shared_kernelILj8EfEEviiiPKT0_S3_S3_PS1_
	.p2align	8
	.type	_ZN9rocsparseL44gtsv_nopivot_strided_batch_pcr_shared_kernelILj8EfEEviiiPKT0_S3_S3_PS1_,@function
_ZN9rocsparseL44gtsv_nopivot_strided_batch_pcr_shared_kernelILj8EfEEviiiPKT0_S3_S3_PS1_: ; @_ZN9rocsparseL44gtsv_nopivot_strided_batch_pcr_shared_kernelILj8EfEEviiiPKT0_S3_S3_PS1_
; %bb.0:
	s_clause 0x1
	s_load_b32 s2, s[0:1], 0x8
	s_load_b32 s3, s[0:1], 0x0
	v_dual_mov_b32 v4, 0 :: v_dual_mov_b32 v5, 0
	s_waitcnt lgkmcnt(0)
	v_mad_u64_u32 v[1:2], null, s15, s2, v[0:1]
	v_cmp_gt_i32_e64 s2, s3, v0
	s_delay_alu instid0(VALU_DEP_2) | instskip(NEXT) | instid1(VALU_DEP_2)
	v_ashrrev_i32_e32 v2, 31, v1
	s_and_saveexec_b32 s4, s2
	s_cbranch_execz .LBB10_2
; %bb.1:
	s_load_b64 s[6:7], s[0:1], 0x10
	s_delay_alu instid0(VALU_DEP_1) | instskip(SKIP_1) | instid1(VALU_DEP_1)
	v_lshlrev_b64 v[5:6], 2, v[1:2]
	s_waitcnt lgkmcnt(0)
	v_add_co_u32 v5, vcc_lo, s6, v5
	s_delay_alu instid0(VALU_DEP_2)
	v_add_co_ci_u32_e32 v6, vcc_lo, s7, v6, vcc_lo
	global_load_b32 v5, v[5:6], off
.LBB10_2:
	s_or_b32 exec_lo, exec_lo, s4
	v_lshlrev_b32_e32 v3, 2, v0
	s_waitcnt vmcnt(0)
	ds_store_b32 v3, v5
	s_and_saveexec_b32 s4, s2
	s_cbranch_execz .LBB10_4
; %bb.3:
	s_load_b64 s[6:7], s[0:1], 0x18
	v_lshlrev_b64 v[4:5], 2, v[1:2]
	s_waitcnt lgkmcnt(0)
	s_delay_alu instid0(VALU_DEP_1) | instskip(NEXT) | instid1(VALU_DEP_2)
	v_add_co_u32 v4, vcc_lo, s6, v4
	v_add_co_ci_u32_e32 v5, vcc_lo, s7, v5, vcc_lo
	global_load_b32 v4, v[4:5], off
.LBB10_4:
	s_or_b32 exec_lo, exec_lo, s4
	s_load_b64 s[4:5], s[0:1], 0x28
	v_dual_mov_b32 v6, 0 :: v_dual_mov_b32 v7, 0
	s_waitcnt vmcnt(0)
	ds_store_b32 v3, v4 offset:32
	s_and_saveexec_b32 s6, s2
	s_cbranch_execz .LBB10_6
; %bb.5:
	s_load_b64 s[0:1], s[0:1], 0x20
	v_lshlrev_b64 v[4:5], 2, v[1:2]
	s_waitcnt lgkmcnt(0)
	s_delay_alu instid0(VALU_DEP_1) | instskip(NEXT) | instid1(VALU_DEP_2)
	v_add_co_u32 v4, vcc_lo, s0, v4
	v_add_co_ci_u32_e32 v5, vcc_lo, s1, v5, vcc_lo
	global_load_b32 v7, v[4:5], off
.LBB10_6:
	s_or_b32 exec_lo, exec_lo, s6
	v_or_b32_e32 v4, 32, v3
	v_or_b32_e32 v5, 64, v3
	s_waitcnt vmcnt(0)
	ds_store_b32 v3, v7 offset:64
	s_and_saveexec_b32 s0, s2
	s_cbranch_execz .LBB10_8
; %bb.7:
	v_lshlrev_b64 v[6:7], 2, v[1:2]
	s_waitcnt lgkmcnt(0)
	s_delay_alu instid0(VALU_DEP_1) | instskip(NEXT) | instid1(VALU_DEP_2)
	v_add_co_u32 v6, vcc_lo, s4, v6
	v_add_co_ci_u32_e32 v7, vcc_lo, s5, v7, vcc_lo
	global_load_b32 v6, v[6:7], off
.LBB10_8:
	s_or_b32 exec_lo, exec_lo, s0
	v_add_nc_u32_e32 v7, 1, v0
	v_max_u32_e32 v8, 1, v0
	s_add_i32 s1, s3, -1
	s_waitcnt vmcnt(0)
	ds_store_b32 v3, v6 offset:128
	s_waitcnt lgkmcnt(0)
	v_cmp_gt_i32_e32 vcc_lo, s3, v7
	; wave barrier
	buffer_gl0_inv
	v_dual_cndmask_b32 v7, s1, v7 :: v_dual_lshlrev_b32 v10, 2, v8
	s_delay_alu instid0(VALU_DEP_1)
	v_lshlrev_b32_e32 v11, 2, v7
	ds_load_2addr_b32 v[6:7], v10 offset0:7 offset1:15
	ds_load_b32 v12, v3
	ds_load_b32 v13, v5
	ds_load_2addr_b32 v[8:9], v11 offset1:8
	s_waitcnt lgkmcnt(2)
	v_div_scale_f32 v18, null, v6, v6, v12
	s_waitcnt lgkmcnt(0)
	v_div_scale_f32 v19, null, v9, v9, v13
	v_div_scale_f32 v23, vcc_lo, v12, v6, v12
	s_delay_alu instid0(VALU_DEP_3) | instskip(NEXT) | instid1(VALU_DEP_2)
	v_rcp_f32_e32 v20, v18
	v_rcp_f32_e32 v21, v19
	v_div_scale_f32 v24, s0, v13, v9, v13
	s_waitcnt_depctr 0xfff
	v_fma_f32 v22, -v19, v21, 1.0
	s_delay_alu instid0(VALU_DEP_1)
	v_dual_fmac_f32 v21, v22, v21 :: v_dual_add_nc_u32 v14, -4, v10
	ds_load_b32 v15, v3 offset:128
	ds_load_b32 v16, v10 offset:124
	ds_load_b32 v17, v4
	ds_load_b32 v14, v14
	v_fma_f32 v10, -v18, v20, 1.0
	s_delay_alu instid0(VALU_DEP_1) | instskip(NEXT) | instid1(VALU_DEP_1)
	v_dual_mul_f32 v25, v24, v21 :: v_dual_fmac_f32 v20, v10, v20
	v_fma_f32 v26, -v19, v25, v24
	s_delay_alu instid0(VALU_DEP_1) | instskip(NEXT) | instid1(VALU_DEP_1)
	v_dual_mul_f32 v22, v23, v20 :: v_dual_fmac_f32 v25, v26, v21
	v_fma_f32 v10, -v18, v22, v23
	s_delay_alu instid0(VALU_DEP_1)
	v_fmac_f32_e32 v22, v10, v20
	ds_load_2addr_b32 v[10:11], v11 offset0:16 offset1:32
	s_waitcnt vmcnt(0) lgkmcnt(0)
	s_waitcnt_vscnt null, 0x0
	; wave barrier
	s_waitcnt lgkmcnt(0)
	buffer_gl0_inv
	v_fma_f32 v18, -v18, v22, v23
	s_delay_alu instid0(VALU_DEP_1) | instskip(SKIP_3) | instid1(VALU_DEP_3)
	v_div_fmas_f32 v18, v18, v20, v22
	v_add_nc_u32_e32 v20, 2, v0
	v_fma_f32 v19, -v19, v25, v24
	s_mov_b32 vcc_lo, s0
	v_div_fixup_f32 v6, v18, v6, v12
	v_max_u32_e32 v12, 2, v0
	s_delay_alu instid0(VALU_DEP_3) | instskip(SKIP_1) | instid1(VALU_DEP_4)
	v_div_fmas_f32 v19, v19, v21, v25
	v_cmp_gt_i32_e32 vcc_lo, s3, v20
	v_fma_f32 v7, -v6, v7, v17
	s_delay_alu instid0(VALU_DEP_4) | instskip(NEXT) | instid1(VALU_DEP_4)
	v_lshlrev_b32_e32 v12, 2, v12
	v_div_fixup_f32 v9, v19, v9, v13
	v_fma_f32 v13, -v6, v16, v15
	v_cndmask_b32_e32 v18, s1, v20, vcc_lo
	v_mul_f32_e64 v6, v6, -v14
	s_delay_alu instid0(VALU_DEP_4) | instskip(NEXT) | instid1(VALU_DEP_4)
	v_fma_f32 v7, -v9, v8, v7
	v_fma_f32 v11, -v9, v11, v13
	s_delay_alu instid0(VALU_DEP_4)
	v_lshlrev_b32_e32 v15, 2, v18
	v_mul_f32_e64 v8, v9, -v10
	ds_store_b32 v3, v11 offset:128
	ds_store_b32 v3, v6
	ds_store_b32 v4, v7
	;; [unrolled: 1-line block ×3, first 2 shown]
	s_waitcnt vmcnt(0) lgkmcnt(0)
	s_waitcnt_vscnt null, 0x0
	; wave barrier
	s_waitcnt lgkmcnt(0)
	buffer_gl0_inv
	ds_load_2addr_b32 v[6:7], v12 offset0:6 offset1:14
	ds_load_b32 v13, v3
	ds_load_b32 v14, v5
	ds_load_2addr_b32 v[8:9], v15 offset1:8
	v_add_nc_u32_e32 v10, -8, v12
	ds_load_b32 v16, v3 offset:128
	ds_load_b32 v12, v12 offset:120
	ds_load_b32 v17, v4
	ds_load_b32 v18, v10
	s_waitcnt lgkmcnt(6)
	v_div_scale_f32 v19, null, v6, v6, v13
	s_waitcnt lgkmcnt(4)
	v_div_scale_f32 v20, null, v9, v9, v14
	v_div_scale_f32 v23, vcc_lo, v13, v6, v13
	s_delay_alu instid0(VALU_DEP_3) | instskip(NEXT) | instid1(VALU_DEP_2)
	v_rcp_f32_e32 v21, v19
	v_rcp_f32_e32 v22, v20
	v_div_scale_f32 v24, s0, v14, v9, v14
	s_waitcnt_depctr 0xfff
	v_fma_f32 v10, -v19, v21, 1.0
	v_fma_f32 v11, -v20, v22, 1.0
	s_delay_alu instid0(VALU_DEP_1) | instskip(NEXT) | instid1(VALU_DEP_1)
	v_dual_fmac_f32 v21, v10, v21 :: v_dual_fmac_f32 v22, v11, v22
	v_mul_f32_e32 v25, v23, v21
	s_delay_alu instid0(VALU_DEP_1) | instskip(NEXT) | instid1(VALU_DEP_1)
	v_fma_f32 v10, -v19, v25, v23
	v_dual_mul_f32 v26, v24, v22 :: v_dual_fmac_f32 v25, v10, v21
	s_delay_alu instid0(VALU_DEP_1) | instskip(NEXT) | instid1(VALU_DEP_1)
	v_fma_f32 v11, -v20, v26, v24
	v_fmac_f32_e32 v26, v11, v22
	ds_load_2addr_b32 v[10:11], v15 offset0:16 offset1:32
	v_fma_f32 v15, -v19, v25, v23
	s_waitcnt vmcnt(0) lgkmcnt(0)
	s_waitcnt_vscnt null, 0x0
	; wave barrier
	s_waitcnt lgkmcnt(0)
	buffer_gl0_inv
	v_fma_f32 v19, -v20, v26, v24
	v_div_fmas_f32 v15, v15, v21, v25
	s_mov_b32 vcc_lo, s0
	s_mov_b32 s0, exec_lo
	s_delay_alu instid0(VALU_DEP_2) | instskip(NEXT) | instid1(VALU_DEP_2)
	v_div_fmas_f32 v19, v19, v22, v26
	v_div_fixup_f32 v6, v15, v6, v13
	s_delay_alu instid0(VALU_DEP_2) | instskip(NEXT) | instid1(VALU_DEP_2)
	v_div_fixup_f32 v9, v19, v9, v14
	v_fma_f32 v12, -v6, v12, v16
	v_fma_f32 v7, -v6, v7, v17
	v_mul_f32_e64 v6, v6, -v18
	s_delay_alu instid0(VALU_DEP_3) | instskip(NEXT) | instid1(VALU_DEP_3)
	v_fma_f32 v11, -v9, v11, v12
	v_fma_f32 v7, -v9, v8, v7
	v_mul_f32_e64 v8, v9, -v10
	ds_store_b32 v3, v11 offset:128
	ds_store_b32 v3, v6
	ds_store_b32 v4, v7
	;; [unrolled: 1-line block ×3, first 2 shown]
	s_waitcnt vmcnt(0) lgkmcnt(0)
	s_waitcnt_vscnt null, 0x0
	; wave barrier
	s_waitcnt lgkmcnt(0)
	buffer_gl0_inv
	v_cmpx_gt_u32_e32 4, v0
	s_cbranch_execz .LBB10_14
; %bb.9:
	v_or_b32_e32 v6, 4, v0
	v_or_b32_e32 v7, 0x80, v3
	s_mov_b32 s1, exec_lo
                                        ; implicit-def: $vgpr8
	s_delay_alu instid0(VALU_DEP_2)
	v_cmpx_le_i32_e64 s3, v6
	s_xor_b32 s1, exec_lo, s1
	s_cbranch_execz .LBB10_11
; %bb.10:
	ds_load_b32 v5, v7
	ds_load_b32 v4, v4
	s_waitcnt lgkmcnt(0)
	v_div_scale_f32 v6, null, v4, v4, v5
	s_delay_alu instid0(VALU_DEP_1) | instskip(SKIP_2) | instid1(VALU_DEP_1)
	v_rcp_f32_e32 v7, v6
	s_waitcnt_depctr 0xfff
	v_fma_f32 v8, -v6, v7, 1.0
	v_fmac_f32_e32 v7, v8, v7
	v_div_scale_f32 v8, vcc_lo, v5, v4, v5
	s_delay_alu instid0(VALU_DEP_1) | instskip(NEXT) | instid1(VALU_DEP_1)
	v_mul_f32_e32 v9, v8, v7
	v_fma_f32 v10, -v6, v9, v8
	s_delay_alu instid0(VALU_DEP_1) | instskip(NEXT) | instid1(VALU_DEP_1)
	v_fmac_f32_e32 v9, v10, v7
	v_fma_f32 v6, -v6, v9, v8
	s_delay_alu instid0(VALU_DEP_1) | instskip(NEXT) | instid1(VALU_DEP_1)
	v_div_fmas_f32 v6, v6, v7, v9
                                        ; implicit-def: $vgpr7
	v_div_fixup_f32 v8, v6, v4, v5
                                        ; implicit-def: $vgpr4
                                        ; implicit-def: $vgpr5
                                        ; implicit-def: $vgpr6
.LBB10_11:
	s_and_not1_saveexec_b32 s1, s1
	s_cbranch_execz .LBB10_13
; %bb.12:
	ds_load_b32 v0, v5
	ds_load_b32 v9, v3 offset:16
	ds_load_2addr_b32 v[4:5], v4 offset1:4
	s_waitcnt lgkmcnt(1)
	v_mul_f32_e32 v8, v0, v9
	s_waitcnt lgkmcnt(0)
	s_delay_alu instid0(VALU_DEP_1) | instskip(NEXT) | instid1(VALU_DEP_1)
	v_fma_f32 v10, v5, v4, -v8
	v_div_scale_f32 v11, null, v10, v10, 1.0
	v_div_scale_f32 v13, vcc_lo, 1.0, v10, 1.0
	s_delay_alu instid0(VALU_DEP_2) | instskip(SKIP_2) | instid1(VALU_DEP_1)
	v_rcp_f32_e32 v12, v11
	s_waitcnt_depctr 0xfff
	v_fma_f32 v8, -v11, v12, 1.0
	v_fmac_f32_e32 v12, v8, v12
	ds_load_2addr_b32 v[7:8], v7 offset1:4
	v_mul_f32_e32 v14, v13, v12
	s_delay_alu instid0(VALU_DEP_1) | instskip(NEXT) | instid1(VALU_DEP_1)
	v_fma_f32 v15, -v11, v14, v13
	v_fmac_f32_e32 v14, v15, v12
	s_delay_alu instid0(VALU_DEP_1) | instskip(SKIP_2) | instid1(VALU_DEP_2)
	v_fma_f32 v11, -v11, v14, v13
	s_waitcnt lgkmcnt(0)
	v_dual_mul_f32 v9, v9, v7 :: v_dual_mul_f32 v0, v0, v8
	v_div_fmas_f32 v11, v11, v12, v14
	s_delay_alu instid0(VALU_DEP_2) | instskip(NEXT) | instid1(VALU_DEP_3)
	v_fma_f32 v4, v4, v8, -v9
	v_fma_f32 v0, v5, v7, -v0
	s_delay_alu instid0(VALU_DEP_3) | instskip(NEXT) | instid1(VALU_DEP_1)
	v_div_fixup_f32 v5, v11, v10, 1.0
	v_dual_mul_f32 v7, v5, v0 :: v_dual_mov_b32 v0, v6
	s_delay_alu instid0(VALU_DEP_4)
	v_mul_f32_e32 v8, v5, v4
	ds_store_b32 v3, v7 offset:96
.LBB10_13:
	s_or_b32 exec_lo, exec_lo, s1
	v_lshlrev_b32_e32 v0, 2, v0
	ds_store_b32 v0, v8 offset:96
.LBB10_14:
	s_or_b32 exec_lo, exec_lo, s0
	s_waitcnt vmcnt(0) lgkmcnt(0)
	s_waitcnt_vscnt null, 0x0
	; wave barrier
	s_waitcnt lgkmcnt(0)
	buffer_gl0_inv
	s_and_saveexec_b32 s0, s2
	s_cbranch_execz .LBB10_16
; %bb.15:
	ds_load_b32 v3, v3 offset:96
	v_lshlrev_b64 v[0:1], 2, v[1:2]
	s_delay_alu instid0(VALU_DEP_1) | instskip(NEXT) | instid1(VALU_DEP_2)
	v_add_co_u32 v0, vcc_lo, s4, v0
	v_add_co_ci_u32_e32 v1, vcc_lo, s5, v1, vcc_lo
	s_waitcnt lgkmcnt(0)
	global_store_b32 v[0:1], v3, off
.LBB10_16:
	s_nop 0
	s_sendmsg sendmsg(MSG_DEALLOC_VGPRS)
	s_endpgm
	.section	.rodata,"a",@progbits
	.p2align	6, 0x0
	.amdhsa_kernel _ZN9rocsparseL44gtsv_nopivot_strided_batch_pcr_shared_kernelILj8EfEEviiiPKT0_S3_S3_PS1_
		.amdhsa_group_segment_fixed_size 160
		.amdhsa_private_segment_fixed_size 0
		.amdhsa_kernarg_size 48
		.amdhsa_user_sgpr_count 15
		.amdhsa_user_sgpr_dispatch_ptr 0
		.amdhsa_user_sgpr_queue_ptr 0
		.amdhsa_user_sgpr_kernarg_segment_ptr 1
		.amdhsa_user_sgpr_dispatch_id 0
		.amdhsa_user_sgpr_private_segment_size 0
		.amdhsa_wavefront_size32 1
		.amdhsa_uses_dynamic_stack 0
		.amdhsa_enable_private_segment 0
		.amdhsa_system_sgpr_workgroup_id_x 1
		.amdhsa_system_sgpr_workgroup_id_y 0
		.amdhsa_system_sgpr_workgroup_id_z 0
		.amdhsa_system_sgpr_workgroup_info 0
		.amdhsa_system_vgpr_workitem_id 0
		.amdhsa_next_free_vgpr 27
		.amdhsa_next_free_sgpr 16
		.amdhsa_reserve_vcc 1
		.amdhsa_float_round_mode_32 0
		.amdhsa_float_round_mode_16_64 0
		.amdhsa_float_denorm_mode_32 3
		.amdhsa_float_denorm_mode_16_64 3
		.amdhsa_dx10_clamp 1
		.amdhsa_ieee_mode 1
		.amdhsa_fp16_overflow 0
		.amdhsa_workgroup_processor_mode 1
		.amdhsa_memory_ordered 1
		.amdhsa_forward_progress 0
		.amdhsa_shared_vgpr_count 0
		.amdhsa_exception_fp_ieee_invalid_op 0
		.amdhsa_exception_fp_denorm_src 0
		.amdhsa_exception_fp_ieee_div_zero 0
		.amdhsa_exception_fp_ieee_overflow 0
		.amdhsa_exception_fp_ieee_underflow 0
		.amdhsa_exception_fp_ieee_inexact 0
		.amdhsa_exception_int_div_zero 0
	.end_amdhsa_kernel
	.section	.text._ZN9rocsparseL44gtsv_nopivot_strided_batch_pcr_shared_kernelILj8EfEEviiiPKT0_S3_S3_PS1_,"axG",@progbits,_ZN9rocsparseL44gtsv_nopivot_strided_batch_pcr_shared_kernelILj8EfEEviiiPKT0_S3_S3_PS1_,comdat
.Lfunc_end10:
	.size	_ZN9rocsparseL44gtsv_nopivot_strided_batch_pcr_shared_kernelILj8EfEEviiiPKT0_S3_S3_PS1_, .Lfunc_end10-_ZN9rocsparseL44gtsv_nopivot_strided_batch_pcr_shared_kernelILj8EfEEviiiPKT0_S3_S3_PS1_
                                        ; -- End function
	.section	.AMDGPU.csdata,"",@progbits
; Kernel info:
; codeLenInByte = 1676
; NumSgprs: 18
; NumVgprs: 27
; ScratchSize: 0
; MemoryBound: 0
; FloatMode: 240
; IeeeMode: 1
; LDSByteSize: 160 bytes/workgroup (compile time only)
; SGPRBlocks: 2
; VGPRBlocks: 3
; NumSGPRsForWavesPerEU: 18
; NumVGPRsForWavesPerEU: 27
; Occupancy: 16
; WaveLimiterHint : 0
; COMPUTE_PGM_RSRC2:SCRATCH_EN: 0
; COMPUTE_PGM_RSRC2:USER_SGPR: 15
; COMPUTE_PGM_RSRC2:TRAP_HANDLER: 0
; COMPUTE_PGM_RSRC2:TGID_X_EN: 1
; COMPUTE_PGM_RSRC2:TGID_Y_EN: 0
; COMPUTE_PGM_RSRC2:TGID_Z_EN: 0
; COMPUTE_PGM_RSRC2:TIDIG_COMP_CNT: 0
	.section	.text._ZN9rocsparseL44gtsv_nopivot_strided_batch_pcr_shared_kernelILj16EfEEviiiPKT0_S3_S3_PS1_,"axG",@progbits,_ZN9rocsparseL44gtsv_nopivot_strided_batch_pcr_shared_kernelILj16EfEEviiiPKT0_S3_S3_PS1_,comdat
	.globl	_ZN9rocsparseL44gtsv_nopivot_strided_batch_pcr_shared_kernelILj16EfEEviiiPKT0_S3_S3_PS1_ ; -- Begin function _ZN9rocsparseL44gtsv_nopivot_strided_batch_pcr_shared_kernelILj16EfEEviiiPKT0_S3_S3_PS1_
	.p2align	8
	.type	_ZN9rocsparseL44gtsv_nopivot_strided_batch_pcr_shared_kernelILj16EfEEviiiPKT0_S3_S3_PS1_,@function
_ZN9rocsparseL44gtsv_nopivot_strided_batch_pcr_shared_kernelILj16EfEEviiiPKT0_S3_S3_PS1_: ; @_ZN9rocsparseL44gtsv_nopivot_strided_batch_pcr_shared_kernelILj16EfEEviiiPKT0_S3_S3_PS1_
; %bb.0:
	s_clause 0x1
	s_load_b32 s2, s[0:1], 0x8
	s_load_b32 s3, s[0:1], 0x0
	v_dual_mov_b32 v4, 0 :: v_dual_mov_b32 v5, 0
	s_waitcnt lgkmcnt(0)
	v_mad_u64_u32 v[1:2], null, s15, s2, v[0:1]
	v_cmp_gt_i32_e64 s2, s3, v0
	s_delay_alu instid0(VALU_DEP_2) | instskip(NEXT) | instid1(VALU_DEP_2)
	v_ashrrev_i32_e32 v2, 31, v1
	s_and_saveexec_b32 s4, s2
	s_cbranch_execz .LBB11_2
; %bb.1:
	s_load_b64 s[6:7], s[0:1], 0x10
	s_delay_alu instid0(VALU_DEP_1) | instskip(SKIP_1) | instid1(VALU_DEP_1)
	v_lshlrev_b64 v[5:6], 2, v[1:2]
	s_waitcnt lgkmcnt(0)
	v_add_co_u32 v5, vcc_lo, s6, v5
	s_delay_alu instid0(VALU_DEP_2)
	v_add_co_ci_u32_e32 v6, vcc_lo, s7, v6, vcc_lo
	global_load_b32 v5, v[5:6], off
.LBB11_2:
	s_or_b32 exec_lo, exec_lo, s4
	v_lshlrev_b32_e32 v3, 2, v0
	s_waitcnt vmcnt(0)
	ds_store_b32 v3, v5
	s_and_saveexec_b32 s4, s2
	s_cbranch_execz .LBB11_4
; %bb.3:
	s_load_b64 s[6:7], s[0:1], 0x18
	v_lshlrev_b64 v[4:5], 2, v[1:2]
	s_waitcnt lgkmcnt(0)
	s_delay_alu instid0(VALU_DEP_1) | instskip(NEXT) | instid1(VALU_DEP_2)
	v_add_co_u32 v4, vcc_lo, s6, v4
	v_add_co_ci_u32_e32 v5, vcc_lo, s7, v5, vcc_lo
	global_load_b32 v4, v[4:5], off
.LBB11_4:
	s_or_b32 exec_lo, exec_lo, s4
	s_load_b64 s[4:5], s[0:1], 0x28
	v_dual_mov_b32 v6, 0 :: v_dual_mov_b32 v7, 0
	s_waitcnt vmcnt(0)
	ds_store_b32 v3, v4 offset:64
	s_and_saveexec_b32 s6, s2
	s_cbranch_execz .LBB11_6
; %bb.5:
	s_load_b64 s[0:1], s[0:1], 0x20
	v_lshlrev_b64 v[4:5], 2, v[1:2]
	s_waitcnt lgkmcnt(0)
	s_delay_alu instid0(VALU_DEP_1) | instskip(NEXT) | instid1(VALU_DEP_2)
	v_add_co_u32 v4, vcc_lo, s0, v4
	v_add_co_ci_u32_e32 v5, vcc_lo, s1, v5, vcc_lo
	global_load_b32 v7, v[4:5], off
.LBB11_6:
	s_or_b32 exec_lo, exec_lo, s6
	v_or_b32_e32 v4, 64, v3
	v_or_b32_e32 v5, 0x80, v3
	s_waitcnt vmcnt(0)
	ds_store_b32 v3, v7 offset:128
	s_and_saveexec_b32 s0, s2
	s_cbranch_execz .LBB11_8
; %bb.7:
	v_lshlrev_b64 v[6:7], 2, v[1:2]
	s_waitcnt lgkmcnt(0)
	s_delay_alu instid0(VALU_DEP_1) | instskip(NEXT) | instid1(VALU_DEP_2)
	v_add_co_u32 v6, vcc_lo, s4, v6
	v_add_co_ci_u32_e32 v7, vcc_lo, s5, v7, vcc_lo
	global_load_b32 v6, v[6:7], off
.LBB11_8:
	s_or_b32 exec_lo, exec_lo, s0
	v_add_nc_u32_e32 v7, 1, v0
	v_max_u32_e32 v8, 1, v0
	s_add_i32 s1, s3, -1
	s_waitcnt vmcnt(0)
	ds_store_b32 v3, v6 offset:256
	s_waitcnt lgkmcnt(0)
	v_cmp_gt_i32_e32 vcc_lo, s3, v7
	; wave barrier
	buffer_gl0_inv
	v_dual_cndmask_b32 v7, s1, v7 :: v_dual_lshlrev_b32 v10, 2, v8
	s_delay_alu instid0(VALU_DEP_1)
	v_lshlrev_b32_e32 v11, 2, v7
	ds_load_2addr_b32 v[6:7], v10 offset0:15 offset1:31
	ds_load_b32 v12, v3
	ds_load_b32 v13, v5
	ds_load_2addr_b32 v[8:9], v11 offset1:16
	s_waitcnt lgkmcnt(2)
	v_div_scale_f32 v18, null, v6, v6, v12
	s_waitcnt lgkmcnt(0)
	v_div_scale_f32 v19, null, v9, v9, v13
	v_div_scale_f32 v23, vcc_lo, v12, v6, v12
	s_delay_alu instid0(VALU_DEP_3) | instskip(NEXT) | instid1(VALU_DEP_2)
	v_rcp_f32_e32 v20, v18
	v_rcp_f32_e32 v21, v19
	v_div_scale_f32 v24, s0, v13, v9, v13
	s_waitcnt_depctr 0xfff
	v_fma_f32 v22, -v19, v21, 1.0
	s_delay_alu instid0(VALU_DEP_1)
	v_dual_fmac_f32 v21, v22, v21 :: v_dual_add_nc_u32 v14, -4, v10
	ds_load_b32 v15, v3 offset:256
	ds_load_b32 v16, v10 offset:252
	ds_load_b32 v17, v4
	ds_load_b32 v14, v14
	v_fma_f32 v10, -v18, v20, 1.0
	s_delay_alu instid0(VALU_DEP_1) | instskip(NEXT) | instid1(VALU_DEP_1)
	v_dual_mul_f32 v25, v24, v21 :: v_dual_fmac_f32 v20, v10, v20
	v_fma_f32 v26, -v19, v25, v24
	s_delay_alu instid0(VALU_DEP_1) | instskip(NEXT) | instid1(VALU_DEP_1)
	v_dual_mul_f32 v22, v23, v20 :: v_dual_fmac_f32 v25, v26, v21
	v_fma_f32 v10, -v18, v22, v23
	s_delay_alu instid0(VALU_DEP_1)
	v_fmac_f32_e32 v22, v10, v20
	ds_load_2addr_b32 v[10:11], v11 offset0:32 offset1:64
	s_waitcnt vmcnt(0) lgkmcnt(0)
	s_waitcnt_vscnt null, 0x0
	; wave barrier
	s_waitcnt lgkmcnt(0)
	buffer_gl0_inv
	v_fma_f32 v18, -v18, v22, v23
	s_delay_alu instid0(VALU_DEP_1) | instskip(SKIP_3) | instid1(VALU_DEP_3)
	v_div_fmas_f32 v18, v18, v20, v22
	v_add_nc_u32_e32 v20, 2, v0
	v_fma_f32 v19, -v19, v25, v24
	s_mov_b32 vcc_lo, s0
	v_div_fixup_f32 v6, v18, v6, v12
	v_max_u32_e32 v12, 2, v0
	s_delay_alu instid0(VALU_DEP_3) | instskip(SKIP_1) | instid1(VALU_DEP_4)
	v_div_fmas_f32 v19, v19, v21, v25
	v_cmp_gt_i32_e32 vcc_lo, s3, v20
	v_fma_f32 v7, -v6, v7, v17
	s_delay_alu instid0(VALU_DEP_4) | instskip(NEXT) | instid1(VALU_DEP_4)
	v_lshlrev_b32_e32 v12, 2, v12
	v_div_fixup_f32 v9, v19, v9, v13
	v_fma_f32 v13, -v6, v16, v15
	v_cndmask_b32_e32 v18, s1, v20, vcc_lo
	v_mul_f32_e64 v6, v6, -v14
	s_delay_alu instid0(VALU_DEP_4) | instskip(NEXT) | instid1(VALU_DEP_4)
	v_fma_f32 v7, -v9, v8, v7
	v_fma_f32 v11, -v9, v11, v13
	s_delay_alu instid0(VALU_DEP_4)
	v_lshlrev_b32_e32 v15, 2, v18
	v_mul_f32_e64 v8, v9, -v10
	ds_store_b32 v3, v11 offset:256
	ds_store_b32 v3, v6
	ds_store_b32 v4, v7
	;; [unrolled: 1-line block ×3, first 2 shown]
	s_waitcnt vmcnt(0) lgkmcnt(0)
	s_waitcnt_vscnt null, 0x0
	; wave barrier
	s_waitcnt lgkmcnt(0)
	buffer_gl0_inv
	ds_load_2addr_b32 v[6:7], v12 offset0:14 offset1:30
	ds_load_b32 v13, v3
	ds_load_b32 v14, v5
	ds_load_2addr_b32 v[8:9], v15 offset1:16
	v_add_nc_u32_e32 v10, -8, v12
	ds_load_b32 v16, v3 offset:256
	ds_load_b32 v12, v12 offset:248
	ds_load_b32 v17, v4
	ds_load_b32 v18, v10
	s_waitcnt lgkmcnt(6)
	v_div_scale_f32 v19, null, v6, v6, v13
	s_waitcnt lgkmcnt(4)
	v_div_scale_f32 v20, null, v9, v9, v14
	v_div_scale_f32 v23, vcc_lo, v13, v6, v13
	s_delay_alu instid0(VALU_DEP_3) | instskip(NEXT) | instid1(VALU_DEP_2)
	v_rcp_f32_e32 v21, v19
	v_rcp_f32_e32 v22, v20
	v_div_scale_f32 v24, s0, v14, v9, v14
	s_waitcnt_depctr 0xfff
	v_fma_f32 v10, -v19, v21, 1.0
	v_fma_f32 v11, -v20, v22, 1.0
	s_delay_alu instid0(VALU_DEP_1) | instskip(NEXT) | instid1(VALU_DEP_1)
	v_dual_fmac_f32 v21, v10, v21 :: v_dual_fmac_f32 v22, v11, v22
	v_mul_f32_e32 v25, v23, v21
	s_delay_alu instid0(VALU_DEP_1) | instskip(NEXT) | instid1(VALU_DEP_1)
	v_fma_f32 v10, -v19, v25, v23
	v_dual_mul_f32 v26, v24, v22 :: v_dual_fmac_f32 v25, v10, v21
	s_delay_alu instid0(VALU_DEP_1) | instskip(NEXT) | instid1(VALU_DEP_1)
	v_fma_f32 v11, -v20, v26, v24
	v_fmac_f32_e32 v26, v11, v22
	ds_load_2addr_b32 v[10:11], v15 offset0:32 offset1:64
	v_fma_f32 v15, -v19, v25, v23
	s_waitcnt vmcnt(0) lgkmcnt(0)
	s_waitcnt_vscnt null, 0x0
	; wave barrier
	s_waitcnt lgkmcnt(0)
	buffer_gl0_inv
	v_fma_f32 v19, -v20, v26, v24
	v_add_nc_u32_e32 v20, 4, v0
	v_div_fmas_f32 v15, v15, v21, v25
	s_mov_b32 vcc_lo, s0
	s_delay_alu instid0(VALU_DEP_3) | instskip(NEXT) | instid1(VALU_DEP_3)
	v_div_fmas_f32 v19, v19, v22, v26
	v_cmp_gt_i32_e32 vcc_lo, s3, v20
	s_delay_alu instid0(VALU_DEP_3) | instskip(SKIP_1) | instid1(VALU_DEP_4)
	v_div_fixup_f32 v6, v15, v6, v13
	v_max_u32_e32 v13, 4, v0
	v_div_fixup_f32 v9, v19, v9, v14
	v_cndmask_b32_e32 v15, s1, v20, vcc_lo
	s_delay_alu instid0(VALU_DEP_4)
	v_fma_f32 v12, -v6, v12, v16
	v_fma_f32 v7, -v6, v7, v17
	v_lshlrev_b32_e32 v13, 2, v13
	v_mul_f32_e64 v6, v6, -v18
	v_lshlrev_b32_e32 v14, 2, v15
	v_fma_f32 v11, -v9, v11, v12
	v_fma_f32 v7, -v9, v8, v7
	v_mul_f32_e64 v8, v9, -v10
	ds_store_b32 v3, v11 offset:256
	ds_store_b32 v3, v6
	ds_store_b32 v4, v7
	;; [unrolled: 1-line block ×3, first 2 shown]
	s_waitcnt vmcnt(0) lgkmcnt(0)
	s_waitcnt_vscnt null, 0x0
	; wave barrier
	s_waitcnt lgkmcnt(0)
	buffer_gl0_inv
	ds_load_2addr_b32 v[6:7], v13 offset0:12 offset1:28
	ds_load_b32 v12, v3
	ds_load_b32 v15, v5
	ds_load_2addr_b32 v[8:9], v14 offset1:16
	s_waitcnt lgkmcnt(2)
	v_div_scale_f32 v19, null, v6, v6, v12
	s_waitcnt lgkmcnt(0)
	v_div_scale_f32 v20, null, v9, v9, v15
	v_div_scale_f32 v23, vcc_lo, v12, v6, v12
	s_delay_alu instid0(VALU_DEP_3) | instskip(NEXT) | instid1(VALU_DEP_2)
	v_rcp_f32_e32 v21, v19
	v_rcp_f32_e32 v22, v20
	v_div_scale_f32 v24, s0, v15, v9, v15
	s_waitcnt_depctr 0xfff
	v_fma_f32 v11, -v20, v22, 1.0
	s_delay_alu instid0(VALU_DEP_1)
	v_fmac_f32_e32 v22, v11, v22
	v_add_nc_u32_e32 v10, -16, v13
	ds_load_b32 v16, v3 offset:256
	ds_load_b32 v13, v13 offset:240
	ds_load_b32 v17, v4
	ds_load_b32 v18, v10
	v_fma_f32 v10, -v19, v21, 1.0
	s_delay_alu instid0(VALU_DEP_1) | instskip(NEXT) | instid1(VALU_DEP_1)
	v_dual_mul_f32 v26, v24, v22 :: v_dual_fmac_f32 v21, v10, v21
	v_fma_f32 v11, -v20, v26, v24
	s_delay_alu instid0(VALU_DEP_2) | instskip(NEXT) | instid1(VALU_DEP_2)
	v_mul_f32_e32 v25, v23, v21
	v_fmac_f32_e32 v26, v11, v22
	s_delay_alu instid0(VALU_DEP_2) | instskip(NEXT) | instid1(VALU_DEP_1)
	v_fma_f32 v10, -v19, v25, v23
	v_fmac_f32_e32 v25, v10, v21
	ds_load_2addr_b32 v[10:11], v14 offset0:32 offset1:64
	s_waitcnt vmcnt(0) lgkmcnt(0)
	s_waitcnt_vscnt null, 0x0
	; wave barrier
	s_waitcnt lgkmcnt(0)
	buffer_gl0_inv
	v_fma_f32 v14, -v19, v25, v23
	v_fma_f32 v19, -v20, v26, v24
	s_delay_alu instid0(VALU_DEP_2) | instskip(SKIP_2) | instid1(VALU_DEP_2)
	v_div_fmas_f32 v14, v14, v21, v25
	s_mov_b32 vcc_lo, s0
	s_mov_b32 s0, exec_lo
	v_div_fmas_f32 v19, v19, v22, v26
	s_delay_alu instid0(VALU_DEP_2) | instskip(NEXT) | instid1(VALU_DEP_2)
	v_div_fixup_f32 v6, v14, v6, v12
	v_div_fixup_f32 v9, v19, v9, v15
	s_delay_alu instid0(VALU_DEP_2) | instskip(SKIP_2) | instid1(VALU_DEP_3)
	v_fma_f32 v12, -v6, v13, v16
	v_fma_f32 v7, -v6, v7, v17
	v_mul_f32_e64 v6, v6, -v18
	v_fma_f32 v11, -v9, v11, v12
	s_delay_alu instid0(VALU_DEP_3)
	v_fma_f32 v7, -v9, v8, v7
	v_mul_f32_e64 v8, v9, -v10
	ds_store_b32 v3, v11 offset:256
	ds_store_b32 v3, v6
	ds_store_b32 v4, v7
	;; [unrolled: 1-line block ×3, first 2 shown]
	s_waitcnt vmcnt(0) lgkmcnt(0)
	s_waitcnt_vscnt null, 0x0
	; wave barrier
	s_waitcnt lgkmcnt(0)
	buffer_gl0_inv
	v_cmpx_gt_u32_e32 8, v0
	s_cbranch_execz .LBB11_14
; %bb.9:
	v_or_b32_e32 v6, 8, v0
	v_or_b32_e32 v7, 0x100, v3
	s_mov_b32 s1, exec_lo
                                        ; implicit-def: $vgpr8
	s_delay_alu instid0(VALU_DEP_2)
	v_cmpx_le_i32_e64 s3, v6
	s_xor_b32 s1, exec_lo, s1
	s_cbranch_execz .LBB11_11
; %bb.10:
	ds_load_b32 v5, v7
	ds_load_b32 v4, v4
	s_waitcnt lgkmcnt(0)
	v_div_scale_f32 v6, null, v4, v4, v5
	s_delay_alu instid0(VALU_DEP_1) | instskip(SKIP_2) | instid1(VALU_DEP_1)
	v_rcp_f32_e32 v7, v6
	s_waitcnt_depctr 0xfff
	v_fma_f32 v8, -v6, v7, 1.0
	v_fmac_f32_e32 v7, v8, v7
	v_div_scale_f32 v8, vcc_lo, v5, v4, v5
	s_delay_alu instid0(VALU_DEP_1) | instskip(NEXT) | instid1(VALU_DEP_1)
	v_mul_f32_e32 v9, v8, v7
	v_fma_f32 v10, -v6, v9, v8
	s_delay_alu instid0(VALU_DEP_1) | instskip(NEXT) | instid1(VALU_DEP_1)
	v_fmac_f32_e32 v9, v10, v7
	v_fma_f32 v6, -v6, v9, v8
	s_delay_alu instid0(VALU_DEP_1) | instskip(NEXT) | instid1(VALU_DEP_1)
	v_div_fmas_f32 v6, v6, v7, v9
                                        ; implicit-def: $vgpr7
	v_div_fixup_f32 v8, v6, v4, v5
                                        ; implicit-def: $vgpr4
                                        ; implicit-def: $vgpr5
                                        ; implicit-def: $vgpr6
.LBB11_11:
	s_and_not1_saveexec_b32 s1, s1
	s_cbranch_execz .LBB11_13
; %bb.12:
	ds_load_b32 v0, v5
	ds_load_b32 v9, v3 offset:32
	ds_load_2addr_b32 v[4:5], v4 offset1:8
	s_waitcnt lgkmcnt(1)
	v_mul_f32_e32 v8, v0, v9
	s_waitcnt lgkmcnt(0)
	s_delay_alu instid0(VALU_DEP_1) | instskip(NEXT) | instid1(VALU_DEP_1)
	v_fma_f32 v10, v5, v4, -v8
	v_div_scale_f32 v11, null, v10, v10, 1.0
	v_div_scale_f32 v13, vcc_lo, 1.0, v10, 1.0
	s_delay_alu instid0(VALU_DEP_2) | instskip(SKIP_2) | instid1(VALU_DEP_1)
	v_rcp_f32_e32 v12, v11
	s_waitcnt_depctr 0xfff
	v_fma_f32 v8, -v11, v12, 1.0
	v_fmac_f32_e32 v12, v8, v12
	ds_load_2addr_b32 v[7:8], v7 offset1:8
	v_mul_f32_e32 v14, v13, v12
	s_delay_alu instid0(VALU_DEP_1) | instskip(NEXT) | instid1(VALU_DEP_1)
	v_fma_f32 v15, -v11, v14, v13
	v_fmac_f32_e32 v14, v15, v12
	s_delay_alu instid0(VALU_DEP_1) | instskip(SKIP_2) | instid1(VALU_DEP_2)
	v_fma_f32 v11, -v11, v14, v13
	s_waitcnt lgkmcnt(0)
	v_dual_mul_f32 v9, v9, v7 :: v_dual_mul_f32 v0, v0, v8
	v_div_fmas_f32 v11, v11, v12, v14
	s_delay_alu instid0(VALU_DEP_2) | instskip(NEXT) | instid1(VALU_DEP_3)
	v_fma_f32 v4, v4, v8, -v9
	v_fma_f32 v0, v5, v7, -v0
	s_delay_alu instid0(VALU_DEP_3) | instskip(NEXT) | instid1(VALU_DEP_1)
	v_div_fixup_f32 v5, v11, v10, 1.0
	v_dual_mul_f32 v7, v5, v0 :: v_dual_mov_b32 v0, v6
	s_delay_alu instid0(VALU_DEP_4)
	v_mul_f32_e32 v8, v5, v4
	ds_store_b32 v3, v7 offset:192
.LBB11_13:
	s_or_b32 exec_lo, exec_lo, s1
	v_lshlrev_b32_e32 v0, 2, v0
	ds_store_b32 v0, v8 offset:192
.LBB11_14:
	s_or_b32 exec_lo, exec_lo, s0
	s_waitcnt vmcnt(0) lgkmcnt(0)
	s_waitcnt_vscnt null, 0x0
	; wave barrier
	s_waitcnt lgkmcnt(0)
	buffer_gl0_inv
	s_and_saveexec_b32 s0, s2
	s_cbranch_execz .LBB11_16
; %bb.15:
	ds_load_b32 v3, v3 offset:192
	v_lshlrev_b64 v[0:1], 2, v[1:2]
	s_delay_alu instid0(VALU_DEP_1) | instskip(NEXT) | instid1(VALU_DEP_2)
	v_add_co_u32 v0, vcc_lo, s4, v0
	v_add_co_ci_u32_e32 v1, vcc_lo, s5, v1, vcc_lo
	s_waitcnt lgkmcnt(0)
	global_store_b32 v[0:1], v3, off
.LBB11_16:
	s_nop 0
	s_sendmsg sendmsg(MSG_DEALLOC_VGPRS)
	s_endpgm
	.section	.rodata,"a",@progbits
	.p2align	6, 0x0
	.amdhsa_kernel _ZN9rocsparseL44gtsv_nopivot_strided_batch_pcr_shared_kernelILj16EfEEviiiPKT0_S3_S3_PS1_
		.amdhsa_group_segment_fixed_size 320
		.amdhsa_private_segment_fixed_size 0
		.amdhsa_kernarg_size 48
		.amdhsa_user_sgpr_count 15
		.amdhsa_user_sgpr_dispatch_ptr 0
		.amdhsa_user_sgpr_queue_ptr 0
		.amdhsa_user_sgpr_kernarg_segment_ptr 1
		.amdhsa_user_sgpr_dispatch_id 0
		.amdhsa_user_sgpr_private_segment_size 0
		.amdhsa_wavefront_size32 1
		.amdhsa_uses_dynamic_stack 0
		.amdhsa_enable_private_segment 0
		.amdhsa_system_sgpr_workgroup_id_x 1
		.amdhsa_system_sgpr_workgroup_id_y 0
		.amdhsa_system_sgpr_workgroup_id_z 0
		.amdhsa_system_sgpr_workgroup_info 0
		.amdhsa_system_vgpr_workitem_id 0
		.amdhsa_next_free_vgpr 27
		.amdhsa_next_free_sgpr 16
		.amdhsa_reserve_vcc 1
		.amdhsa_float_round_mode_32 0
		.amdhsa_float_round_mode_16_64 0
		.amdhsa_float_denorm_mode_32 3
		.amdhsa_float_denorm_mode_16_64 3
		.amdhsa_dx10_clamp 1
		.amdhsa_ieee_mode 1
		.amdhsa_fp16_overflow 0
		.amdhsa_workgroup_processor_mode 1
		.amdhsa_memory_ordered 1
		.amdhsa_forward_progress 0
		.amdhsa_shared_vgpr_count 0
		.amdhsa_exception_fp_ieee_invalid_op 0
		.amdhsa_exception_fp_denorm_src 0
		.amdhsa_exception_fp_ieee_div_zero 0
		.amdhsa_exception_fp_ieee_overflow 0
		.amdhsa_exception_fp_ieee_underflow 0
		.amdhsa_exception_fp_ieee_inexact 0
		.amdhsa_exception_int_div_zero 0
	.end_amdhsa_kernel
	.section	.text._ZN9rocsparseL44gtsv_nopivot_strided_batch_pcr_shared_kernelILj16EfEEviiiPKT0_S3_S3_PS1_,"axG",@progbits,_ZN9rocsparseL44gtsv_nopivot_strided_batch_pcr_shared_kernelILj16EfEEviiiPKT0_S3_S3_PS1_,comdat
.Lfunc_end11:
	.size	_ZN9rocsparseL44gtsv_nopivot_strided_batch_pcr_shared_kernelILj16EfEEviiiPKT0_S3_S3_PS1_, .Lfunc_end11-_ZN9rocsparseL44gtsv_nopivot_strided_batch_pcr_shared_kernelILj16EfEEviiiPKT0_S3_S3_PS1_
                                        ; -- End function
	.section	.AMDGPU.csdata,"",@progbits
; Kernel info:
; codeLenInByte = 2096
; NumSgprs: 18
; NumVgprs: 27
; ScratchSize: 0
; MemoryBound: 0
; FloatMode: 240
; IeeeMode: 1
; LDSByteSize: 320 bytes/workgroup (compile time only)
; SGPRBlocks: 2
; VGPRBlocks: 3
; NumSGPRsForWavesPerEU: 18
; NumVGPRsForWavesPerEU: 27
; Occupancy: 16
; WaveLimiterHint : 0
; COMPUTE_PGM_RSRC2:SCRATCH_EN: 0
; COMPUTE_PGM_RSRC2:USER_SGPR: 15
; COMPUTE_PGM_RSRC2:TRAP_HANDLER: 0
; COMPUTE_PGM_RSRC2:TGID_X_EN: 1
; COMPUTE_PGM_RSRC2:TGID_Y_EN: 0
; COMPUTE_PGM_RSRC2:TGID_Z_EN: 0
; COMPUTE_PGM_RSRC2:TIDIG_COMP_CNT: 0
	.section	.text._ZN9rocsparseL44gtsv_nopivot_strided_batch_pcr_shared_kernelILj32EfEEviiiPKT0_S3_S3_PS1_,"axG",@progbits,_ZN9rocsparseL44gtsv_nopivot_strided_batch_pcr_shared_kernelILj32EfEEviiiPKT0_S3_S3_PS1_,comdat
	.globl	_ZN9rocsparseL44gtsv_nopivot_strided_batch_pcr_shared_kernelILj32EfEEviiiPKT0_S3_S3_PS1_ ; -- Begin function _ZN9rocsparseL44gtsv_nopivot_strided_batch_pcr_shared_kernelILj32EfEEviiiPKT0_S3_S3_PS1_
	.p2align	8
	.type	_ZN9rocsparseL44gtsv_nopivot_strided_batch_pcr_shared_kernelILj32EfEEviiiPKT0_S3_S3_PS1_,@function
_ZN9rocsparseL44gtsv_nopivot_strided_batch_pcr_shared_kernelILj32EfEEviiiPKT0_S3_S3_PS1_: ; @_ZN9rocsparseL44gtsv_nopivot_strided_batch_pcr_shared_kernelILj32EfEEviiiPKT0_S3_S3_PS1_
; %bb.0:
	s_clause 0x1
	s_load_b32 s2, s[0:1], 0x8
	s_load_b32 s3, s[0:1], 0x0
	v_dual_mov_b32 v4, 0 :: v_dual_mov_b32 v5, 0
	s_waitcnt lgkmcnt(0)
	v_mad_u64_u32 v[1:2], null, s15, s2, v[0:1]
	v_cmp_gt_i32_e64 s2, s3, v0
	s_delay_alu instid0(VALU_DEP_2) | instskip(NEXT) | instid1(VALU_DEP_2)
	v_ashrrev_i32_e32 v2, 31, v1
	s_and_saveexec_b32 s4, s2
	s_cbranch_execz .LBB12_2
; %bb.1:
	s_load_b64 s[6:7], s[0:1], 0x10
	s_delay_alu instid0(VALU_DEP_1) | instskip(SKIP_1) | instid1(VALU_DEP_1)
	v_lshlrev_b64 v[5:6], 2, v[1:2]
	s_waitcnt lgkmcnt(0)
	v_add_co_u32 v5, vcc_lo, s6, v5
	s_delay_alu instid0(VALU_DEP_2)
	v_add_co_ci_u32_e32 v6, vcc_lo, s7, v6, vcc_lo
	global_load_b32 v5, v[5:6], off
.LBB12_2:
	s_or_b32 exec_lo, exec_lo, s4
	v_lshlrev_b32_e32 v3, 2, v0
	s_waitcnt vmcnt(0)
	ds_store_b32 v3, v5
	s_and_saveexec_b32 s4, s2
	s_cbranch_execz .LBB12_4
; %bb.3:
	s_load_b64 s[6:7], s[0:1], 0x18
	v_lshlrev_b64 v[4:5], 2, v[1:2]
	s_waitcnt lgkmcnt(0)
	s_delay_alu instid0(VALU_DEP_1) | instskip(NEXT) | instid1(VALU_DEP_2)
	v_add_co_u32 v4, vcc_lo, s6, v4
	v_add_co_ci_u32_e32 v5, vcc_lo, s7, v5, vcc_lo
	global_load_b32 v4, v[4:5], off
.LBB12_4:
	s_or_b32 exec_lo, exec_lo, s4
	s_load_b64 s[4:5], s[0:1], 0x28
	v_dual_mov_b32 v6, 0 :: v_dual_mov_b32 v7, 0
	s_waitcnt vmcnt(0)
	ds_store_b32 v3, v4 offset:128
	s_and_saveexec_b32 s6, s2
	s_cbranch_execz .LBB12_6
; %bb.5:
	s_load_b64 s[0:1], s[0:1], 0x20
	v_lshlrev_b64 v[4:5], 2, v[1:2]
	s_waitcnt lgkmcnt(0)
	s_delay_alu instid0(VALU_DEP_1) | instskip(NEXT) | instid1(VALU_DEP_2)
	v_add_co_u32 v4, vcc_lo, s0, v4
	v_add_co_ci_u32_e32 v5, vcc_lo, s1, v5, vcc_lo
	global_load_b32 v7, v[4:5], off
.LBB12_6:
	s_or_b32 exec_lo, exec_lo, s6
	v_or_b32_e32 v4, 0x80, v3
	v_or_b32_e32 v5, 0x100, v3
	s_waitcnt vmcnt(0)
	ds_store_b32 v3, v7 offset:256
	s_and_saveexec_b32 s0, s2
	s_cbranch_execz .LBB12_8
; %bb.7:
	v_lshlrev_b64 v[6:7], 2, v[1:2]
	s_waitcnt lgkmcnt(0)
	s_delay_alu instid0(VALU_DEP_1) | instskip(NEXT) | instid1(VALU_DEP_2)
	v_add_co_u32 v6, vcc_lo, s4, v6
	v_add_co_ci_u32_e32 v7, vcc_lo, s5, v7, vcc_lo
	global_load_b32 v6, v[6:7], off
.LBB12_8:
	s_or_b32 exec_lo, exec_lo, s0
	v_add_nc_u32_e32 v7, 1, v0
	s_add_i32 s1, s3, -1
	v_max_u32_e32 v8, 1, v0
	s_waitcnt vmcnt(0)
	ds_store_b32 v3, v6 offset:512
	s_waitcnt lgkmcnt(0)
	v_cmp_gt_i32_e32 vcc_lo, s3, v7
	; wave barrier
	buffer_gl0_inv
	v_dual_cndmask_b32 v7, s1, v7 :: v_dual_lshlrev_b32 v10, 2, v8
	s_delay_alu instid0(VALU_DEP_1)
	v_lshlrev_b32_e32 v11, 2, v7
	ds_load_b32 v12, v3
	ds_load_2addr_b32 v[6:7], v10 offset0:31 offset1:63
	ds_load_2addr_b32 v[8:9], v11 offset1:32
	ds_load_b32 v13, v5
	s_waitcnt lgkmcnt(2)
	v_div_scale_f32 v18, null, v6, v6, v12
	s_waitcnt lgkmcnt(0)
	v_div_scale_f32 v19, null, v9, v9, v13
	v_div_scale_f32 v23, vcc_lo, v12, v6, v12
	s_delay_alu instid0(VALU_DEP_3) | instskip(NEXT) | instid1(VALU_DEP_2)
	v_rcp_f32_e32 v20, v18
	v_rcp_f32_e32 v21, v19
	v_div_scale_f32 v24, s0, v13, v9, v13
	s_waitcnt_depctr 0xfff
	v_fma_f32 v22, -v19, v21, 1.0
	s_delay_alu instid0(VALU_DEP_1)
	v_dual_fmac_f32 v21, v22, v21 :: v_dual_add_nc_u32 v14, -4, v10
	ds_load_b32 v15, v4
	ds_load_b32 v16, v3 offset:512
	ds_load_b32 v17, v10 offset:508
	ds_load_b32 v14, v14
	v_fma_f32 v10, -v18, v20, 1.0
	s_delay_alu instid0(VALU_DEP_1) | instskip(NEXT) | instid1(VALU_DEP_1)
	v_dual_mul_f32 v25, v24, v21 :: v_dual_fmac_f32 v20, v10, v20
	v_fma_f32 v26, -v19, v25, v24
	s_delay_alu instid0(VALU_DEP_1) | instskip(NEXT) | instid1(VALU_DEP_1)
	v_dual_mul_f32 v22, v23, v20 :: v_dual_fmac_f32 v25, v26, v21
	v_fma_f32 v10, -v18, v22, v23
	s_delay_alu instid0(VALU_DEP_1)
	v_fmac_f32_e32 v22, v10, v20
	ds_load_2addr_stride64_b32 v[10:11], v11 offset0:1 offset1:2
	s_waitcnt vmcnt(0) lgkmcnt(0)
	s_waitcnt_vscnt null, 0x0
	; wave barrier
	s_waitcnt lgkmcnt(0)
	buffer_gl0_inv
	v_fma_f32 v18, -v18, v22, v23
	s_delay_alu instid0(VALU_DEP_1) | instskip(SKIP_3) | instid1(VALU_DEP_3)
	v_div_fmas_f32 v18, v18, v20, v22
	v_add_nc_u32_e32 v20, 2, v0
	v_fma_f32 v19, -v19, v25, v24
	s_mov_b32 vcc_lo, s0
	v_div_fixup_f32 v6, v18, v6, v12
	v_max_u32_e32 v12, 2, v0
	s_delay_alu instid0(VALU_DEP_3) | instskip(SKIP_1) | instid1(VALU_DEP_4)
	v_div_fmas_f32 v19, v19, v21, v25
	v_cmp_gt_i32_e32 vcc_lo, s3, v20
	v_fma_f32 v7, -v6, v7, v15
	s_delay_alu instid0(VALU_DEP_4) | instskip(NEXT) | instid1(VALU_DEP_4)
	v_lshlrev_b32_e32 v12, 2, v12
	v_div_fixup_f32 v9, v19, v9, v13
	v_fma_f32 v13, -v6, v17, v16
	v_cndmask_b32_e32 v18, s1, v20, vcc_lo
	v_mul_f32_e64 v6, v6, -v14
	s_delay_alu instid0(VALU_DEP_4) | instskip(NEXT) | instid1(VALU_DEP_4)
	v_fma_f32 v7, -v9, v8, v7
	v_fma_f32 v11, -v9, v11, v13
	s_delay_alu instid0(VALU_DEP_4)
	v_lshlrev_b32_e32 v15, 2, v18
	v_mul_f32_e64 v8, v9, -v10
	ds_store_b32 v3, v11 offset:512
	ds_store_b32 v3, v6
	ds_store_b32 v4, v7
	;; [unrolled: 1-line block ×3, first 2 shown]
	s_waitcnt vmcnt(0) lgkmcnt(0)
	s_waitcnt_vscnt null, 0x0
	; wave barrier
	s_waitcnt lgkmcnt(0)
	buffer_gl0_inv
	ds_load_b32 v13, v3
	ds_load_2addr_b32 v[6:7], v12 offset0:30 offset1:62
	ds_load_2addr_b32 v[8:9], v15 offset1:32
	ds_load_b32 v14, v5
	v_add_nc_u32_e32 v10, -8, v12
	ds_load_b32 v16, v4
	ds_load_b32 v17, v3 offset:512
	ds_load_b32 v12, v12 offset:504
	ds_load_b32 v18, v10
	s_waitcnt lgkmcnt(6)
	v_div_scale_f32 v19, null, v6, v6, v13
	s_waitcnt lgkmcnt(4)
	v_div_scale_f32 v20, null, v9, v9, v14
	v_div_scale_f32 v23, vcc_lo, v13, v6, v13
	s_delay_alu instid0(VALU_DEP_3) | instskip(NEXT) | instid1(VALU_DEP_2)
	v_rcp_f32_e32 v21, v19
	v_rcp_f32_e32 v22, v20
	v_div_scale_f32 v24, s0, v14, v9, v14
	s_waitcnt_depctr 0xfff
	v_fma_f32 v10, -v19, v21, 1.0
	v_fma_f32 v11, -v20, v22, 1.0
	s_delay_alu instid0(VALU_DEP_1) | instskip(NEXT) | instid1(VALU_DEP_1)
	v_dual_fmac_f32 v21, v10, v21 :: v_dual_fmac_f32 v22, v11, v22
	v_mul_f32_e32 v25, v23, v21
	s_delay_alu instid0(VALU_DEP_1) | instskip(NEXT) | instid1(VALU_DEP_1)
	v_fma_f32 v10, -v19, v25, v23
	v_dual_mul_f32 v26, v24, v22 :: v_dual_fmac_f32 v25, v10, v21
	s_delay_alu instid0(VALU_DEP_1) | instskip(NEXT) | instid1(VALU_DEP_1)
	v_fma_f32 v11, -v20, v26, v24
	v_fmac_f32_e32 v26, v11, v22
	ds_load_2addr_stride64_b32 v[10:11], v15 offset0:1 offset1:2
	v_fma_f32 v15, -v19, v25, v23
	s_waitcnt vmcnt(0) lgkmcnt(0)
	s_waitcnt_vscnt null, 0x0
	; wave barrier
	s_waitcnt lgkmcnt(0)
	buffer_gl0_inv
	v_fma_f32 v19, -v20, v26, v24
	v_add_nc_u32_e32 v20, 4, v0
	v_div_fmas_f32 v15, v15, v21, v25
	s_mov_b32 vcc_lo, s0
	s_delay_alu instid0(VALU_DEP_3) | instskip(NEXT) | instid1(VALU_DEP_3)
	v_div_fmas_f32 v19, v19, v22, v26
	v_cmp_gt_i32_e32 vcc_lo, s3, v20
	s_delay_alu instid0(VALU_DEP_3) | instskip(SKIP_1) | instid1(VALU_DEP_4)
	v_div_fixup_f32 v6, v15, v6, v13
	v_max_u32_e32 v13, 4, v0
	v_div_fixup_f32 v9, v19, v9, v14
	v_cndmask_b32_e32 v15, s1, v20, vcc_lo
	s_delay_alu instid0(VALU_DEP_4)
	v_fma_f32 v12, -v6, v12, v17
	v_fma_f32 v7, -v6, v7, v16
	v_lshlrev_b32_e32 v13, 2, v13
	v_mul_f32_e64 v6, v6, -v18
	v_lshlrev_b32_e32 v14, 2, v15
	v_fma_f32 v11, -v9, v11, v12
	v_fma_f32 v7, -v9, v8, v7
	v_mul_f32_e64 v8, v9, -v10
	ds_store_b32 v3, v11 offset:512
	ds_store_b32 v3, v6
	ds_store_b32 v4, v7
	;; [unrolled: 1-line block ×3, first 2 shown]
	s_waitcnt vmcnt(0) lgkmcnt(0)
	s_waitcnt_vscnt null, 0x0
	; wave barrier
	s_waitcnt lgkmcnt(0)
	buffer_gl0_inv
	ds_load_b32 v12, v3
	ds_load_2addr_b32 v[6:7], v13 offset0:28 offset1:60
	ds_load_2addr_b32 v[8:9], v14 offset1:32
	ds_load_b32 v15, v5
	s_waitcnt lgkmcnt(2)
	v_div_scale_f32 v19, null, v6, v6, v12
	s_waitcnt lgkmcnt(0)
	v_div_scale_f32 v20, null, v9, v9, v15
	v_div_scale_f32 v23, vcc_lo, v12, v6, v12
	s_delay_alu instid0(VALU_DEP_3) | instskip(NEXT) | instid1(VALU_DEP_2)
	v_rcp_f32_e32 v21, v19
	v_rcp_f32_e32 v22, v20
	v_div_scale_f32 v24, s0, v15, v9, v15
	s_waitcnt_depctr 0xfff
	v_fma_f32 v11, -v20, v22, 1.0
	s_delay_alu instid0(VALU_DEP_1)
	v_fmac_f32_e32 v22, v11, v22
	v_add_nc_u32_e32 v10, -16, v13
	ds_load_b32 v16, v4
	ds_load_b32 v17, v3 offset:512
	ds_load_b32 v13, v13 offset:496
	ds_load_b32 v18, v10
	v_fma_f32 v10, -v19, v21, 1.0
	s_delay_alu instid0(VALU_DEP_1) | instskip(NEXT) | instid1(VALU_DEP_1)
	v_dual_mul_f32 v26, v24, v22 :: v_dual_fmac_f32 v21, v10, v21
	v_fma_f32 v11, -v20, v26, v24
	s_delay_alu instid0(VALU_DEP_2) | instskip(NEXT) | instid1(VALU_DEP_2)
	v_mul_f32_e32 v25, v23, v21
	v_fmac_f32_e32 v26, v11, v22
	s_delay_alu instid0(VALU_DEP_2) | instskip(NEXT) | instid1(VALU_DEP_1)
	v_fma_f32 v10, -v19, v25, v23
	v_fmac_f32_e32 v25, v10, v21
	ds_load_2addr_stride64_b32 v[10:11], v14 offset0:1 offset1:2
	s_waitcnt vmcnt(0) lgkmcnt(0)
	s_waitcnt_vscnt null, 0x0
	; wave barrier
	s_waitcnt lgkmcnt(0)
	buffer_gl0_inv
	v_fma_f32 v14, -v19, v25, v23
	v_fma_f32 v19, -v20, v26, v24
	v_add_nc_u32_e32 v20, 8, v0
	s_delay_alu instid0(VALU_DEP_3) | instskip(SKIP_1) | instid1(VALU_DEP_3)
	v_div_fmas_f32 v14, v14, v21, v25
	s_mov_b32 vcc_lo, s0
	v_div_fmas_f32 v19, v19, v22, v26
	s_delay_alu instid0(VALU_DEP_3) | instskip(NEXT) | instid1(VALU_DEP_3)
	v_cmp_gt_i32_e32 vcc_lo, s3, v20
	v_div_fixup_f32 v6, v14, v6, v12
	v_max_u32_e32 v12, 8, v0
	s_delay_alu instid0(VALU_DEP_4) | instskip(SKIP_1) | instid1(VALU_DEP_4)
	v_div_fixup_f32 v9, v19, v9, v15
	v_cndmask_b32_e32 v14, s1, v20, vcc_lo
	v_fma_f32 v13, -v6, v13, v17
	v_fma_f32 v7, -v6, v7, v16
	v_lshlrev_b32_e32 v12, 2, v12
	v_mul_f32_e64 v6, v6, -v18
	v_lshlrev_b32_e32 v14, 2, v14
	v_fma_f32 v11, -v9, v11, v13
	v_fma_f32 v7, -v9, v8, v7
	v_mul_f32_e64 v8, v9, -v10
	ds_store_b32 v3, v11 offset:512
	ds_store_b32 v3, v6
	ds_store_b32 v4, v7
	;; [unrolled: 1-line block ×3, first 2 shown]
	s_waitcnt vmcnt(0) lgkmcnt(0)
	s_waitcnt_vscnt null, 0x0
	; wave barrier
	s_waitcnt lgkmcnt(0)
	buffer_gl0_inv
	ds_load_b32 v13, v3
	ds_load_2addr_b32 v[6:7], v12 offset0:24 offset1:56
	ds_load_2addr_b32 v[8:9], v14 offset1:32
	ds_load_b32 v15, v5
	v_subrev_nc_u32_e32 v10, 32, v12
	ds_load_b32 v16, v4
	ds_load_b32 v17, v3 offset:512
	ds_load_b32 v12, v12 offset:480
	ds_load_b32 v18, v10
	s_waitcnt lgkmcnt(6)
	v_div_scale_f32 v19, null, v6, v6, v13
	s_waitcnt lgkmcnt(4)
	v_div_scale_f32 v20, null, v9, v9, v15
	v_div_scale_f32 v23, vcc_lo, v13, v6, v13
	s_delay_alu instid0(VALU_DEP_3) | instskip(NEXT) | instid1(VALU_DEP_2)
	v_rcp_f32_e32 v21, v19
	v_rcp_f32_e32 v22, v20
	v_div_scale_f32 v24, s0, v15, v9, v15
	s_waitcnt_depctr 0xfff
	v_fma_f32 v10, -v19, v21, 1.0
	v_fma_f32 v11, -v20, v22, 1.0
	s_delay_alu instid0(VALU_DEP_1) | instskip(NEXT) | instid1(VALU_DEP_1)
	v_dual_fmac_f32 v21, v10, v21 :: v_dual_fmac_f32 v22, v11, v22
	v_dual_mul_f32 v25, v23, v21 :: v_dual_mul_f32 v26, v24, v22
	s_delay_alu instid0(VALU_DEP_1) | instskip(NEXT) | instid1(VALU_DEP_2)
	v_fma_f32 v10, -v19, v25, v23
	v_fma_f32 v11, -v20, v26, v24
	s_delay_alu instid0(VALU_DEP_1)
	v_dual_fmac_f32 v25, v10, v21 :: v_dual_fmac_f32 v26, v11, v22
	ds_load_2addr_stride64_b32 v[10:11], v14 offset0:1 offset1:2
	s_waitcnt vmcnt(0) lgkmcnt(0)
	s_waitcnt_vscnt null, 0x0
	; wave barrier
	s_waitcnt lgkmcnt(0)
	buffer_gl0_inv
	v_fma_f32 v14, -v19, v25, v23
	v_fma_f32 v19, -v20, v26, v24
	s_delay_alu instid0(VALU_DEP_2) | instskip(SKIP_2) | instid1(VALU_DEP_2)
	v_div_fmas_f32 v14, v14, v21, v25
	s_mov_b32 vcc_lo, s0
	s_mov_b32 s0, exec_lo
	v_div_fmas_f32 v19, v19, v22, v26
	s_delay_alu instid0(VALU_DEP_2) | instskip(NEXT) | instid1(VALU_DEP_2)
	v_div_fixup_f32 v6, v14, v6, v13
	v_div_fixup_f32 v9, v19, v9, v15
	s_delay_alu instid0(VALU_DEP_2) | instskip(SKIP_2) | instid1(VALU_DEP_3)
	v_fma_f32 v12, -v6, v12, v17
	v_fma_f32 v7, -v6, v7, v16
	v_mul_f32_e64 v6, v6, -v18
	v_fma_f32 v11, -v9, v11, v12
	s_delay_alu instid0(VALU_DEP_3)
	v_fma_f32 v7, -v9, v8, v7
	v_mul_f32_e64 v8, v9, -v10
	ds_store_b32 v3, v11 offset:512
	ds_store_b32 v3, v6
	ds_store_b32 v4, v7
	;; [unrolled: 1-line block ×3, first 2 shown]
	s_waitcnt vmcnt(0) lgkmcnt(0)
	s_waitcnt_vscnt null, 0x0
	; wave barrier
	s_waitcnt lgkmcnt(0)
	buffer_gl0_inv
	v_cmpx_gt_u32_e32 16, v0
	s_cbranch_execz .LBB12_14
; %bb.9:
	v_or_b32_e32 v6, 16, v0
	v_or_b32_e32 v7, 0x200, v3
	s_mov_b32 s1, exec_lo
                                        ; implicit-def: $vgpr8
	s_delay_alu instid0(VALU_DEP_2)
	v_cmpx_le_i32_e64 s3, v6
	s_xor_b32 s1, exec_lo, s1
	s_cbranch_execz .LBB12_11
; %bb.10:
	ds_load_b32 v5, v7
	ds_load_b32 v4, v4
	s_waitcnt lgkmcnt(0)
	v_div_scale_f32 v6, null, v4, v4, v5
	s_delay_alu instid0(VALU_DEP_1) | instskip(SKIP_2) | instid1(VALU_DEP_1)
	v_rcp_f32_e32 v7, v6
	s_waitcnt_depctr 0xfff
	v_fma_f32 v8, -v6, v7, 1.0
	v_fmac_f32_e32 v7, v8, v7
	v_div_scale_f32 v8, vcc_lo, v5, v4, v5
	s_delay_alu instid0(VALU_DEP_1) | instskip(NEXT) | instid1(VALU_DEP_1)
	v_mul_f32_e32 v9, v8, v7
	v_fma_f32 v10, -v6, v9, v8
	s_delay_alu instid0(VALU_DEP_1) | instskip(NEXT) | instid1(VALU_DEP_1)
	v_fmac_f32_e32 v9, v10, v7
	v_fma_f32 v6, -v6, v9, v8
	s_delay_alu instid0(VALU_DEP_1) | instskip(NEXT) | instid1(VALU_DEP_1)
	v_div_fmas_f32 v6, v6, v7, v9
                                        ; implicit-def: $vgpr7
	v_div_fixup_f32 v8, v6, v4, v5
                                        ; implicit-def: $vgpr4
                                        ; implicit-def: $vgpr5
                                        ; implicit-def: $vgpr6
.LBB12_11:
	s_and_not1_saveexec_b32 s1, s1
	s_cbranch_execz .LBB12_13
; %bb.12:
	ds_load_b32 v0, v5
	ds_load_b32 v9, v3 offset:64
	ds_load_2addr_b32 v[4:5], v4 offset1:16
	s_waitcnt lgkmcnt(1)
	v_mul_f32_e32 v8, v0, v9
	s_waitcnt lgkmcnt(0)
	s_delay_alu instid0(VALU_DEP_1) | instskip(NEXT) | instid1(VALU_DEP_1)
	v_fma_f32 v10, v5, v4, -v8
	v_div_scale_f32 v11, null, v10, v10, 1.0
	v_div_scale_f32 v13, vcc_lo, 1.0, v10, 1.0
	s_delay_alu instid0(VALU_DEP_2) | instskip(SKIP_2) | instid1(VALU_DEP_1)
	v_rcp_f32_e32 v12, v11
	s_waitcnt_depctr 0xfff
	v_fma_f32 v8, -v11, v12, 1.0
	v_fmac_f32_e32 v12, v8, v12
	ds_load_2addr_b32 v[7:8], v7 offset1:16
	v_mul_f32_e32 v14, v13, v12
	s_delay_alu instid0(VALU_DEP_1) | instskip(NEXT) | instid1(VALU_DEP_1)
	v_fma_f32 v15, -v11, v14, v13
	v_fmac_f32_e32 v14, v15, v12
	s_delay_alu instid0(VALU_DEP_1) | instskip(SKIP_2) | instid1(VALU_DEP_2)
	v_fma_f32 v11, -v11, v14, v13
	s_waitcnt lgkmcnt(0)
	v_dual_mul_f32 v9, v9, v7 :: v_dual_mul_f32 v0, v0, v8
	v_div_fmas_f32 v11, v11, v12, v14
	s_delay_alu instid0(VALU_DEP_2) | instskip(NEXT) | instid1(VALU_DEP_3)
	v_fma_f32 v4, v4, v8, -v9
	v_fma_f32 v0, v5, v7, -v0
	s_delay_alu instid0(VALU_DEP_3) | instskip(NEXT) | instid1(VALU_DEP_1)
	v_div_fixup_f32 v5, v11, v10, 1.0
	v_dual_mul_f32 v7, v5, v0 :: v_dual_mov_b32 v0, v6
	s_delay_alu instid0(VALU_DEP_4)
	v_mul_f32_e32 v8, v5, v4
	ds_store_b32 v3, v7 offset:384
.LBB12_13:
	s_or_b32 exec_lo, exec_lo, s1
	v_lshlrev_b32_e32 v0, 2, v0
	ds_store_b32 v0, v8 offset:384
.LBB12_14:
	s_or_b32 exec_lo, exec_lo, s0
	s_waitcnt vmcnt(0) lgkmcnt(0)
	s_waitcnt_vscnt null, 0x0
	; wave barrier
	s_waitcnt lgkmcnt(0)
	buffer_gl0_inv
	s_and_saveexec_b32 s0, s2
	s_cbranch_execz .LBB12_16
; %bb.15:
	ds_load_b32 v3, v3 offset:384
	v_lshlrev_b64 v[0:1], 2, v[1:2]
	s_delay_alu instid0(VALU_DEP_1) | instskip(NEXT) | instid1(VALU_DEP_2)
	v_add_co_u32 v0, vcc_lo, s4, v0
	v_add_co_ci_u32_e32 v1, vcc_lo, s5, v1, vcc_lo
	s_waitcnt lgkmcnt(0)
	global_store_b32 v[0:1], v3, off
.LBB12_16:
	s_nop 0
	s_sendmsg sendmsg(MSG_DEALLOC_VGPRS)
	s_endpgm
	.section	.rodata,"a",@progbits
	.p2align	6, 0x0
	.amdhsa_kernel _ZN9rocsparseL44gtsv_nopivot_strided_batch_pcr_shared_kernelILj32EfEEviiiPKT0_S3_S3_PS1_
		.amdhsa_group_segment_fixed_size 640
		.amdhsa_private_segment_fixed_size 0
		.amdhsa_kernarg_size 48
		.amdhsa_user_sgpr_count 15
		.amdhsa_user_sgpr_dispatch_ptr 0
		.amdhsa_user_sgpr_queue_ptr 0
		.amdhsa_user_sgpr_kernarg_segment_ptr 1
		.amdhsa_user_sgpr_dispatch_id 0
		.amdhsa_user_sgpr_private_segment_size 0
		.amdhsa_wavefront_size32 1
		.amdhsa_uses_dynamic_stack 0
		.amdhsa_enable_private_segment 0
		.amdhsa_system_sgpr_workgroup_id_x 1
		.amdhsa_system_sgpr_workgroup_id_y 0
		.amdhsa_system_sgpr_workgroup_id_z 0
		.amdhsa_system_sgpr_workgroup_info 0
		.amdhsa_system_vgpr_workitem_id 0
		.amdhsa_next_free_vgpr 27
		.amdhsa_next_free_sgpr 16
		.amdhsa_reserve_vcc 1
		.amdhsa_float_round_mode_32 0
		.amdhsa_float_round_mode_16_64 0
		.amdhsa_float_denorm_mode_32 3
		.amdhsa_float_denorm_mode_16_64 3
		.amdhsa_dx10_clamp 1
		.amdhsa_ieee_mode 1
		.amdhsa_fp16_overflow 0
		.amdhsa_workgroup_processor_mode 1
		.amdhsa_memory_ordered 1
		.amdhsa_forward_progress 0
		.amdhsa_shared_vgpr_count 0
		.amdhsa_exception_fp_ieee_invalid_op 0
		.amdhsa_exception_fp_denorm_src 0
		.amdhsa_exception_fp_ieee_div_zero 0
		.amdhsa_exception_fp_ieee_overflow 0
		.amdhsa_exception_fp_ieee_underflow 0
		.amdhsa_exception_fp_ieee_inexact 0
		.amdhsa_exception_int_div_zero 0
	.end_amdhsa_kernel
	.section	.text._ZN9rocsparseL44gtsv_nopivot_strided_batch_pcr_shared_kernelILj32EfEEviiiPKT0_S3_S3_PS1_,"axG",@progbits,_ZN9rocsparseL44gtsv_nopivot_strided_batch_pcr_shared_kernelILj32EfEEviiiPKT0_S3_S3_PS1_,comdat
.Lfunc_end12:
	.size	_ZN9rocsparseL44gtsv_nopivot_strided_batch_pcr_shared_kernelILj32EfEEviiiPKT0_S3_S3_PS1_, .Lfunc_end12-_ZN9rocsparseL44gtsv_nopivot_strided_batch_pcr_shared_kernelILj32EfEEviiiPKT0_S3_S3_PS1_
                                        ; -- End function
	.section	.AMDGPU.csdata,"",@progbits
; Kernel info:
; codeLenInByte = 2508
; NumSgprs: 18
; NumVgprs: 27
; ScratchSize: 0
; MemoryBound: 0
; FloatMode: 240
; IeeeMode: 1
; LDSByteSize: 640 bytes/workgroup (compile time only)
; SGPRBlocks: 2
; VGPRBlocks: 3
; NumSGPRsForWavesPerEU: 18
; NumVGPRsForWavesPerEU: 27
; Occupancy: 16
; WaveLimiterHint : 0
; COMPUTE_PGM_RSRC2:SCRATCH_EN: 0
; COMPUTE_PGM_RSRC2:USER_SGPR: 15
; COMPUTE_PGM_RSRC2:TRAP_HANDLER: 0
; COMPUTE_PGM_RSRC2:TGID_X_EN: 1
; COMPUTE_PGM_RSRC2:TGID_Y_EN: 0
; COMPUTE_PGM_RSRC2:TGID_Z_EN: 0
; COMPUTE_PGM_RSRC2:TIDIG_COMP_CNT: 0
	.section	.text._ZN9rocsparseL44gtsv_nopivot_strided_batch_pcr_shared_kernelILj64EfEEviiiPKT0_S3_S3_PS1_,"axG",@progbits,_ZN9rocsparseL44gtsv_nopivot_strided_batch_pcr_shared_kernelILj64EfEEviiiPKT0_S3_S3_PS1_,comdat
	.globl	_ZN9rocsparseL44gtsv_nopivot_strided_batch_pcr_shared_kernelILj64EfEEviiiPKT0_S3_S3_PS1_ ; -- Begin function _ZN9rocsparseL44gtsv_nopivot_strided_batch_pcr_shared_kernelILj64EfEEviiiPKT0_S3_S3_PS1_
	.p2align	8
	.type	_ZN9rocsparseL44gtsv_nopivot_strided_batch_pcr_shared_kernelILj64EfEEviiiPKT0_S3_S3_PS1_,@function
_ZN9rocsparseL44gtsv_nopivot_strided_batch_pcr_shared_kernelILj64EfEEviiiPKT0_S3_S3_PS1_: ; @_ZN9rocsparseL44gtsv_nopivot_strided_batch_pcr_shared_kernelILj64EfEEviiiPKT0_S3_S3_PS1_
; %bb.0:
	s_clause 0x1
	s_load_b32 s2, s[0:1], 0x8
	s_load_b32 s3, s[0:1], 0x0
	v_dual_mov_b32 v4, 0 :: v_dual_mov_b32 v5, 0
	s_waitcnt lgkmcnt(0)
	v_mad_u64_u32 v[1:2], null, s15, s2, v[0:1]
	v_cmp_gt_i32_e64 s2, s3, v0
	s_delay_alu instid0(VALU_DEP_2) | instskip(NEXT) | instid1(VALU_DEP_2)
	v_ashrrev_i32_e32 v2, 31, v1
	s_and_saveexec_b32 s4, s2
	s_cbranch_execz .LBB13_2
; %bb.1:
	s_load_b64 s[6:7], s[0:1], 0x10
	s_delay_alu instid0(VALU_DEP_1) | instskip(SKIP_1) | instid1(VALU_DEP_1)
	v_lshlrev_b64 v[5:6], 2, v[1:2]
	s_waitcnt lgkmcnt(0)
	v_add_co_u32 v5, vcc_lo, s6, v5
	s_delay_alu instid0(VALU_DEP_2)
	v_add_co_ci_u32_e32 v6, vcc_lo, s7, v6, vcc_lo
	global_load_b32 v5, v[5:6], off
.LBB13_2:
	s_or_b32 exec_lo, exec_lo, s4
	v_lshlrev_b32_e32 v3, 2, v0
	s_waitcnt vmcnt(0)
	ds_store_b32 v3, v5
	s_and_saveexec_b32 s4, s2
	s_cbranch_execz .LBB13_4
; %bb.3:
	s_load_b64 s[6:7], s[0:1], 0x18
	v_lshlrev_b64 v[4:5], 2, v[1:2]
	s_waitcnt lgkmcnt(0)
	s_delay_alu instid0(VALU_DEP_1) | instskip(NEXT) | instid1(VALU_DEP_2)
	v_add_co_u32 v4, vcc_lo, s6, v4
	v_add_co_ci_u32_e32 v5, vcc_lo, s7, v5, vcc_lo
	global_load_b32 v4, v[4:5], off
.LBB13_4:
	s_or_b32 exec_lo, exec_lo, s4
	s_load_b64 s[4:5], s[0:1], 0x28
	v_dual_mov_b32 v6, 0 :: v_dual_mov_b32 v7, 0
	s_waitcnt vmcnt(0)
	ds_store_b32 v3, v4 offset:256
	s_and_saveexec_b32 s6, s2
	s_cbranch_execz .LBB13_6
; %bb.5:
	s_load_b64 s[0:1], s[0:1], 0x20
	v_lshlrev_b64 v[4:5], 2, v[1:2]
	s_waitcnt lgkmcnt(0)
	s_delay_alu instid0(VALU_DEP_1) | instskip(NEXT) | instid1(VALU_DEP_2)
	v_add_co_u32 v4, vcc_lo, s0, v4
	v_add_co_ci_u32_e32 v5, vcc_lo, s1, v5, vcc_lo
	global_load_b32 v7, v[4:5], off
.LBB13_6:
	s_or_b32 exec_lo, exec_lo, s6
	v_or_b32_e32 v4, 0x100, v3
	v_or_b32_e32 v5, 0x200, v3
	s_waitcnt vmcnt(0)
	ds_store_b32 v3, v7 offset:512
	s_and_saveexec_b32 s0, s2
	s_cbranch_execz .LBB13_8
; %bb.7:
	v_lshlrev_b64 v[6:7], 2, v[1:2]
	s_waitcnt lgkmcnt(0)
	s_delay_alu instid0(VALU_DEP_1) | instskip(NEXT) | instid1(VALU_DEP_2)
	v_add_co_u32 v6, vcc_lo, s4, v6
	v_add_co_ci_u32_e32 v7, vcc_lo, s5, v7, vcc_lo
	global_load_b32 v6, v[6:7], off
.LBB13_8:
	s_or_b32 exec_lo, exec_lo, s0
	s_waitcnt vmcnt(0)
	ds_store_b32 v3, v6 offset:1024
	v_add_nc_u32_e32 v6, 1, v0
	v_max_u32_e32 v7, 1, v0
	s_add_i32 s1, s3, -1
	s_waitcnt lgkmcnt(0)
	s_barrier
	v_cmp_gt_i32_e32 vcc_lo, s3, v6
	v_lshlrev_b32_e32 v10, 2, v7
	buffer_gl0_inv
	v_cndmask_b32_e32 v8, s1, v6, vcc_lo
	ds_load_2addr_b32 v[6:7], v10 offset0:63 offset1:127
	ds_load_b32 v12, v3
	v_add_nc_u32_e32 v14, -4, v10
	v_lshlrev_b32_e32 v11, 2, v8
	ds_load_b32 v13, v5
	ds_load_2addr_stride64_b32 v[8:9], v11 offset1:1
	ds_load_b32 v15, v3 offset:1024
	ds_load_b32 v16, v10 offset:1020
	ds_load_b32 v14, v14
	ds_load_b32 v18, v4
	s_waitcnt lgkmcnt(6)
	v_div_scale_f32 v10, null, v6, v6, v12
	v_div_scale_f32 v22, vcc_lo, v12, v6, v12
	s_delay_alu instid0(VALU_DEP_2) | instskip(SKIP_3) | instid1(VALU_DEP_2)
	v_rcp_f32_e32 v17, v10
	s_waitcnt lgkmcnt(4)
	v_div_scale_f32 v19, null, v9, v9, v13
	v_div_scale_f32 v24, s0, v13, v9, v13
	v_rcp_f32_e32 v20, v19
	s_waitcnt_depctr 0xfff
	v_fma_f32 v21, -v10, v17, 1.0
	s_delay_alu instid0(VALU_DEP_1) | instskip(SKIP_1) | instid1(VALU_DEP_1)
	v_fmac_f32_e32 v17, v21, v17
	v_fma_f32 v21, -v19, v20, 1.0
	v_dual_mul_f32 v23, v22, v17 :: v_dual_fmac_f32 v20, v21, v20
	s_delay_alu instid0(VALU_DEP_1) | instskip(NEXT) | instid1(VALU_DEP_2)
	v_fma_f32 v21, -v10, v23, v22
	v_mul_f32_e32 v25, v24, v20
	s_delay_alu instid0(VALU_DEP_2) | instskip(NEXT) | instid1(VALU_DEP_2)
	v_fmac_f32_e32 v23, v21, v17
	v_fma_f32 v21, -v19, v25, v24
	s_delay_alu instid0(VALU_DEP_2)
	v_fma_f32 v22, -v10, v23, v22
	ds_load_2addr_stride64_b32 v[10:11], v11 offset0:2 offset1:4
	s_waitcnt lgkmcnt(0)
	v_fmac_f32_e32 v25, v21, v20
	v_add_nc_u32_e32 v21, 2, v0
	v_div_fmas_f32 v17, v22, v17, v23
	s_mov_b32 vcc_lo, s0
	v_max_u32_e32 v22, 2, v0
	v_fma_f32 v19, -v19, v25, v24
	s_barrier
	v_div_fixup_f32 v6, v17, v6, v12
	buffer_gl0_inv
	v_div_fmas_f32 v12, v19, v20, v25
	v_cmp_gt_i32_e32 vcc_lo, s3, v21
	v_fma_f32 v7, -v6, v7, v18
	v_lshlrev_b32_e32 v19, 2, v22
	s_delay_alu instid0(VALU_DEP_4) | instskip(SKIP_3) | instid1(VALU_DEP_4)
	v_div_fixup_f32 v9, v12, v9, v13
	v_fma_f32 v12, -v6, v16, v15
	v_cndmask_b32_e32 v17, s1, v21, vcc_lo
	v_mul_f32_e64 v6, v6, -v14
	v_fma_f32 v7, -v9, v8, v7
	s_delay_alu instid0(VALU_DEP_4) | instskip(NEXT) | instid1(VALU_DEP_4)
	v_fma_f32 v11, -v9, v11, v12
	v_lshlrev_b32_e32 v13, 2, v17
	v_mul_f32_e64 v8, v9, -v10
	ds_store_b32 v3, v11 offset:1024
	ds_store_b32 v3, v6
	ds_store_b32 v4, v7
	;; [unrolled: 1-line block ×3, first 2 shown]
	s_waitcnt lgkmcnt(0)
	s_barrier
	buffer_gl0_inv
	ds_load_b32 v12, v3
	ds_load_2addr_b32 v[6:7], v19 offset0:62 offset1:126
	ds_load_2addr_stride64_b32 v[8:9], v13 offset1:1
	ds_load_b32 v14, v5
	v_add_nc_u32_e32 v10, -8, v19
	ds_load_b32 v15, v4
	ds_load_b32 v16, v3 offset:1024
	ds_load_b32 v17, v19 offset:1016
	ds_load_b32 v18, v10
	s_waitcnt lgkmcnt(6)
	v_div_scale_f32 v10, null, v6, v6, v12
	s_waitcnt lgkmcnt(4)
	v_div_scale_f32 v19, null, v9, v9, v14
	v_div_scale_f32 v23, vcc_lo, v12, v6, v12
	s_delay_alu instid0(VALU_DEP_3) | instskip(NEXT) | instid1(VALU_DEP_2)
	v_rcp_f32_e32 v20, v10
	v_rcp_f32_e32 v21, v19
	v_div_scale_f32 v24, s0, v14, v9, v14
	s_waitcnt_depctr 0xfff
	v_fma_f32 v11, -v10, v20, 1.0
	v_fma_f32 v22, -v19, v21, 1.0
	s_delay_alu instid0(VALU_DEP_1) | instskip(NEXT) | instid1(VALU_DEP_1)
	v_dual_fmac_f32 v20, v11, v20 :: v_dual_fmac_f32 v21, v22, v21
	v_mul_f32_e32 v22, v23, v20
	s_delay_alu instid0(VALU_DEP_1) | instskip(NEXT) | instid1(VALU_DEP_1)
	v_fma_f32 v11, -v10, v22, v23
	v_dual_fmac_f32 v22, v11, v20 :: v_dual_mul_f32 v25, v24, v21
	s_delay_alu instid0(VALU_DEP_1) | instskip(NEXT) | instid1(VALU_DEP_2)
	v_fma_f32 v23, -v10, v22, v23
	v_fma_f32 v26, -v19, v25, v24
	ds_load_2addr_stride64_b32 v[10:11], v13 offset0:2 offset1:4
	s_waitcnt lgkmcnt(0)
	s_barrier
	buffer_gl0_inv
	v_dual_fmac_f32 v25, v26, v21 :: v_dual_add_nc_u32 v26, 4, v0
	s_delay_alu instid0(VALU_DEP_1) | instskip(SKIP_3) | instid1(VALU_DEP_3)
	v_fma_f32 v13, -v19, v25, v24
	v_div_fmas_f32 v19, v23, v20, v22
	s_mov_b32 vcc_lo, s0
	v_max_u32_e32 v20, 4, v0
	v_div_fmas_f32 v13, v13, v21, v25
	s_delay_alu instid0(VALU_DEP_3) | instskip(SKIP_1) | instid1(VALU_DEP_4)
	v_div_fixup_f32 v6, v19, v6, v12
	v_cmp_gt_i32_e32 vcc_lo, s3, v26
	v_lshlrev_b32_e32 v19, 2, v20
	s_delay_alu instid0(VALU_DEP_4) | instskip(NEXT) | instid1(VALU_DEP_4)
	v_div_fixup_f32 v9, v13, v9, v14
	v_fma_f32 v13, -v6, v17, v16
	v_cndmask_b32_e32 v12, s1, v26, vcc_lo
	v_fma_f32 v7, -v6, v7, v15
	v_mul_f32_e64 v6, v6, -v18
	s_delay_alu instid0(VALU_DEP_4) | instskip(NEXT) | instid1(VALU_DEP_4)
	v_fma_f32 v11, -v9, v11, v13
	v_lshlrev_b32_e32 v12, 2, v12
	s_delay_alu instid0(VALU_DEP_4)
	v_fma_f32 v7, -v9, v8, v7
	v_mul_f32_e64 v8, v9, -v10
	ds_store_b32 v3, v11 offset:1024
	ds_store_b32 v3, v6
	ds_store_b32 v4, v7
	;; [unrolled: 1-line block ×3, first 2 shown]
	s_waitcnt lgkmcnt(0)
	s_barrier
	buffer_gl0_inv
	ds_load_b32 v13, v3
	ds_load_2addr_b32 v[6:7], v19 offset0:60 offset1:124
	ds_load_2addr_stride64_b32 v[8:9], v12 offset1:1
	ds_load_b32 v14, v5
	v_add_nc_u32_e32 v10, -16, v19
	ds_load_b32 v15, v4
	ds_load_b32 v16, v3 offset:1024
	ds_load_b32 v17, v19 offset:1008
	ds_load_b32 v18, v10
	s_waitcnt lgkmcnt(6)
	v_div_scale_f32 v10, null, v6, v6, v13
	s_waitcnt lgkmcnt(4)
	v_div_scale_f32 v19, null, v9, v9, v14
	v_div_scale_f32 v24, s0, v14, v9, v14
	s_delay_alu instid0(VALU_DEP_3) | instskip(NEXT) | instid1(VALU_DEP_2)
	v_rcp_f32_e32 v20, v10
	v_rcp_f32_e32 v21, v19
	v_div_scale_f32 v23, vcc_lo, v13, v6, v13
	s_waitcnt_depctr 0xfff
	v_fma_f32 v11, -v10, v20, 1.0
	v_fma_f32 v22, -v19, v21, 1.0
	s_delay_alu instid0(VALU_DEP_1) | instskip(NEXT) | instid1(VALU_DEP_1)
	v_dual_fmac_f32 v21, v22, v21 :: v_dual_fmac_f32 v20, v11, v20
	v_mul_f32_e32 v25, v24, v21
	s_delay_alu instid0(VALU_DEP_1) | instskip(NEXT) | instid1(VALU_DEP_1)
	v_fma_f32 v26, -v19, v25, v24
	v_dual_mul_f32 v22, v23, v20 :: v_dual_fmac_f32 v25, v26, v21
	s_delay_alu instid0(VALU_DEP_1) | instskip(SKIP_1) | instid1(VALU_DEP_2)
	v_fma_f32 v11, -v10, v22, v23
	v_add_nc_u32_e32 v26, 8, v0
	v_fmac_f32_e32 v22, v11, v20
	s_delay_alu instid0(VALU_DEP_1)
	v_fma_f32 v23, -v10, v22, v23
	ds_load_2addr_stride64_b32 v[10:11], v12 offset0:2 offset1:4
	v_fma_f32 v12, -v19, v25, v24
	s_waitcnt lgkmcnt(0)
	s_barrier
	v_div_fmas_f32 v19, v23, v20, v22
	s_mov_b32 vcc_lo, s0
	v_max_u32_e32 v20, 8, v0
	v_div_fmas_f32 v12, v12, v21, v25
	v_cmp_gt_i32_e32 vcc_lo, s3, v26
	v_div_fixup_f32 v6, v19, v6, v13
	buffer_gl0_inv
	v_lshlrev_b32_e32 v19, 2, v20
	v_div_fixup_f32 v9, v12, v9, v14
	v_cndmask_b32_e32 v13, s1, v26, vcc_lo
	v_fma_f32 v12, -v6, v17, v16
	v_fma_f32 v7, -v6, v7, v15
	v_mul_f32_e64 v6, v6, -v18
	s_delay_alu instid0(VALU_DEP_4) | instskip(NEXT) | instid1(VALU_DEP_4)
	v_lshlrev_b32_e32 v13, 2, v13
	v_fma_f32 v11, -v9, v11, v12
	s_delay_alu instid0(VALU_DEP_4)
	v_fma_f32 v7, -v9, v8, v7
	v_mul_f32_e64 v8, v9, -v10
	ds_store_b32 v3, v11 offset:1024
	ds_store_b32 v3, v6
	ds_store_b32 v4, v7
	;; [unrolled: 1-line block ×3, first 2 shown]
	s_waitcnt lgkmcnt(0)
	s_barrier
	buffer_gl0_inv
	ds_load_b32 v12, v3
	ds_load_2addr_b32 v[6:7], v19 offset0:56 offset1:120
	ds_load_2addr_stride64_b32 v[8:9], v13 offset1:1
	ds_load_b32 v14, v5
	v_subrev_nc_u32_e32 v10, 32, v19
	ds_load_b32 v15, v4
	ds_load_b32 v16, v3 offset:1024
	ds_load_b32 v17, v19 offset:992
	ds_load_b32 v18, v10
	s_waitcnt lgkmcnt(6)
	v_div_scale_f32 v10, null, v6, v6, v12
	s_waitcnt lgkmcnt(4)
	v_div_scale_f32 v19, null, v9, v9, v14
	v_div_scale_f32 v23, vcc_lo, v12, v6, v12
	s_delay_alu instid0(VALU_DEP_3) | instskip(NEXT) | instid1(VALU_DEP_2)
	v_rcp_f32_e32 v20, v10
	v_rcp_f32_e32 v21, v19
	v_div_scale_f32 v24, s0, v14, v9, v14
	s_waitcnt_depctr 0xfff
	v_fma_f32 v11, -v10, v20, 1.0
	v_fma_f32 v22, -v19, v21, 1.0
	s_delay_alu instid0(VALU_DEP_1) | instskip(NEXT) | instid1(VALU_DEP_1)
	v_dual_fmac_f32 v20, v11, v20 :: v_dual_fmac_f32 v21, v22, v21
	v_dual_mul_f32 v22, v23, v20 :: v_dual_mul_f32 v25, v24, v21
	s_delay_alu instid0(VALU_DEP_1) | instskip(NEXT) | instid1(VALU_DEP_2)
	v_fma_f32 v11, -v10, v22, v23
	v_fma_f32 v26, -v19, v25, v24
	s_delay_alu instid0(VALU_DEP_1) | instskip(SKIP_1) | instid1(VALU_DEP_2)
	v_dual_fmac_f32 v22, v11, v20 :: v_dual_fmac_f32 v25, v26, v21
	v_add_nc_u32_e32 v26, 16, v0
	v_fma_f32 v23, -v10, v22, v23
	ds_load_2addr_stride64_b32 v[10:11], v13 offset0:2 offset1:4
	v_fma_f32 v13, -v19, v25, v24
	s_waitcnt lgkmcnt(0)
	s_barrier
	v_div_fmas_f32 v19, v23, v20, v22
	s_mov_b32 vcc_lo, s0
	v_max_u32_e32 v20, 16, v0
	v_div_fmas_f32 v13, v13, v21, v25
	v_cmp_gt_i32_e32 vcc_lo, s3, v26
	v_div_fixup_f32 v6, v19, v6, v12
	buffer_gl0_inv
	v_lshlrev_b32_e32 v19, 2, v20
	v_div_fixup_f32 v9, v13, v9, v14
	v_cndmask_b32_e32 v12, s1, v26, vcc_lo
	v_fma_f32 v13, -v6, v17, v16
	v_fma_f32 v7, -v6, v7, v15
	v_mul_f32_e64 v6, v6, -v18
	s_delay_alu instid0(VALU_DEP_4) | instskip(NEXT) | instid1(VALU_DEP_4)
	v_lshlrev_b32_e32 v12, 2, v12
	v_fma_f32 v11, -v9, v11, v13
	s_delay_alu instid0(VALU_DEP_4)
	v_fma_f32 v7, -v9, v8, v7
	v_mul_f32_e64 v8, v9, -v10
	ds_store_b32 v3, v11 offset:1024
	ds_store_b32 v3, v6
	ds_store_b32 v4, v7
	;; [unrolled: 1-line block ×3, first 2 shown]
	s_waitcnt lgkmcnt(0)
	s_barrier
	buffer_gl0_inv
	ds_load_b32 v13, v3
	ds_load_2addr_b32 v[6:7], v19 offset0:48 offset1:112
	ds_load_2addr_stride64_b32 v[8:9], v12 offset1:1
	ds_load_b32 v14, v5
	s_waitcnt lgkmcnt(2)
	v_div_scale_f32 v23, vcc_lo, v13, v6, v13
	s_waitcnt lgkmcnt(0)
	v_div_scale_f32 v20, null, v9, v9, v14
	v_div_scale_f32 v24, s0, v14, v9, v14
	s_delay_alu instid0(VALU_DEP_2) | instskip(SKIP_2) | instid1(VALU_DEP_1)
	v_rcp_f32_e32 v22, v20
	s_waitcnt_depctr 0xfff
	v_fma_f32 v11, -v20, v22, 1.0
	v_fmac_f32_e32 v22, v11, v22
	s_delay_alu instid0(VALU_DEP_1) | instskip(NEXT) | instid1(VALU_DEP_1)
	v_mul_f32_e32 v26, v24, v22
	v_fma_f32 v11, -v20, v26, v24
	s_delay_alu instid0(VALU_DEP_1)
	v_fmac_f32_e32 v26, v11, v22
	v_subrev_nc_u32_e32 v10, 64, v19
	ds_load_b32 v15, v4
	ds_load_b32 v16, v3 offset:1024
	ds_load_b32 v17, v19 offset:960
	ds_load_b32 v18, v10
	v_div_scale_f32 v19, null, v6, v6, v13
	s_delay_alu instid0(VALU_DEP_1) | instskip(SKIP_2) | instid1(VALU_DEP_1)
	v_rcp_f32_e32 v21, v19
	s_waitcnt_depctr 0xfff
	v_fma_f32 v10, -v19, v21, 1.0
	v_fmac_f32_e32 v21, v10, v21
	s_delay_alu instid0(VALU_DEP_1) | instskip(NEXT) | instid1(VALU_DEP_1)
	v_mul_f32_e32 v25, v23, v21
	v_fma_f32 v10, -v19, v25, v23
	s_delay_alu instid0(VALU_DEP_1)
	v_fmac_f32_e32 v25, v10, v21
	ds_load_2addr_stride64_b32 v[10:11], v12 offset0:2 offset1:4
	s_waitcnt lgkmcnt(0)
	s_barrier
	buffer_gl0_inv
	v_fma_f32 v12, -v19, v25, v23
	v_fma_f32 v19, -v20, v26, v24
	s_delay_alu instid0(VALU_DEP_2) | instskip(SKIP_2) | instid1(VALU_DEP_2)
	v_div_fmas_f32 v12, v12, v21, v25
	s_mov_b32 vcc_lo, s0
	s_mov_b32 s0, exec_lo
	v_div_fmas_f32 v19, v19, v22, v26
	s_delay_alu instid0(VALU_DEP_2) | instskip(NEXT) | instid1(VALU_DEP_2)
	v_div_fixup_f32 v6, v12, v6, v13
	v_div_fixup_f32 v9, v19, v9, v14
	s_delay_alu instid0(VALU_DEP_2) | instskip(SKIP_2) | instid1(VALU_DEP_3)
	v_fma_f32 v12, -v6, v17, v16
	v_fma_f32 v7, -v6, v7, v15
	v_mul_f32_e64 v6, v6, -v18
	v_fma_f32 v11, -v9, v11, v12
	s_delay_alu instid0(VALU_DEP_3)
	v_fma_f32 v7, -v9, v8, v7
	v_mul_f32_e64 v8, v9, -v10
	ds_store_b32 v3, v11 offset:1024
	ds_store_b32 v3, v6
	ds_store_b32 v4, v7
	;; [unrolled: 1-line block ×3, first 2 shown]
	s_waitcnt lgkmcnt(0)
	s_barrier
	buffer_gl0_inv
	v_cmpx_gt_u32_e32 32, v0
	s_cbranch_execz .LBB13_14
; %bb.9:
	v_or_b32_e32 v6, 32, v0
	v_or_b32_e32 v7, 0x400, v3
	s_mov_b32 s1, exec_lo
                                        ; implicit-def: $vgpr8
	s_delay_alu instid0(VALU_DEP_2)
	v_cmpx_le_i32_e64 s3, v6
	s_xor_b32 s1, exec_lo, s1
	s_cbranch_execz .LBB13_11
; %bb.10:
	ds_load_b32 v5, v7
	ds_load_b32 v4, v4
	s_waitcnt lgkmcnt(0)
	v_div_scale_f32 v6, null, v4, v4, v5
	s_delay_alu instid0(VALU_DEP_1) | instskip(SKIP_2) | instid1(VALU_DEP_1)
	v_rcp_f32_e32 v7, v6
	s_waitcnt_depctr 0xfff
	v_fma_f32 v8, -v6, v7, 1.0
	v_fmac_f32_e32 v7, v8, v7
	v_div_scale_f32 v8, vcc_lo, v5, v4, v5
	s_delay_alu instid0(VALU_DEP_1) | instskip(NEXT) | instid1(VALU_DEP_1)
	v_mul_f32_e32 v9, v8, v7
	v_fma_f32 v10, -v6, v9, v8
	s_delay_alu instid0(VALU_DEP_1) | instskip(NEXT) | instid1(VALU_DEP_1)
	v_fmac_f32_e32 v9, v10, v7
	v_fma_f32 v6, -v6, v9, v8
	s_delay_alu instid0(VALU_DEP_1) | instskip(NEXT) | instid1(VALU_DEP_1)
	v_div_fmas_f32 v6, v6, v7, v9
                                        ; implicit-def: $vgpr7
	v_div_fixup_f32 v8, v6, v4, v5
                                        ; implicit-def: $vgpr4
                                        ; implicit-def: $vgpr5
                                        ; implicit-def: $vgpr6
.LBB13_11:
	s_and_not1_saveexec_b32 s1, s1
	s_cbranch_execz .LBB13_13
; %bb.12:
	ds_load_b32 v0, v5
	ds_load_b32 v9, v3 offset:128
	ds_load_2addr_b32 v[4:5], v4 offset1:32
	s_waitcnt lgkmcnt(1)
	v_mul_f32_e32 v8, v0, v9
	s_waitcnt lgkmcnt(0)
	s_delay_alu instid0(VALU_DEP_1) | instskip(NEXT) | instid1(VALU_DEP_1)
	v_fma_f32 v10, v5, v4, -v8
	v_div_scale_f32 v11, null, v10, v10, 1.0
	v_div_scale_f32 v13, vcc_lo, 1.0, v10, 1.0
	s_delay_alu instid0(VALU_DEP_2) | instskip(SKIP_2) | instid1(VALU_DEP_1)
	v_rcp_f32_e32 v12, v11
	s_waitcnt_depctr 0xfff
	v_fma_f32 v8, -v11, v12, 1.0
	v_fmac_f32_e32 v12, v8, v12
	ds_load_2addr_b32 v[7:8], v7 offset1:32
	v_mul_f32_e32 v14, v13, v12
	s_delay_alu instid0(VALU_DEP_1) | instskip(NEXT) | instid1(VALU_DEP_1)
	v_fma_f32 v15, -v11, v14, v13
	v_fmac_f32_e32 v14, v15, v12
	s_delay_alu instid0(VALU_DEP_1) | instskip(SKIP_2) | instid1(VALU_DEP_2)
	v_fma_f32 v11, -v11, v14, v13
	s_waitcnt lgkmcnt(0)
	v_dual_mul_f32 v9, v9, v7 :: v_dual_mul_f32 v0, v0, v8
	v_div_fmas_f32 v11, v11, v12, v14
	s_delay_alu instid0(VALU_DEP_2) | instskip(NEXT) | instid1(VALU_DEP_3)
	v_fma_f32 v4, v4, v8, -v9
	v_fma_f32 v0, v5, v7, -v0
	s_delay_alu instid0(VALU_DEP_3) | instskip(NEXT) | instid1(VALU_DEP_1)
	v_div_fixup_f32 v5, v11, v10, 1.0
	v_dual_mul_f32 v7, v5, v0 :: v_dual_mov_b32 v0, v6
	s_delay_alu instid0(VALU_DEP_4)
	v_mul_f32_e32 v8, v5, v4
	ds_store_b32 v3, v7 offset:768
.LBB13_13:
	s_or_b32 exec_lo, exec_lo, s1
	v_lshlrev_b32_e32 v0, 2, v0
	ds_store_b32 v0, v8 offset:768
.LBB13_14:
	s_or_b32 exec_lo, exec_lo, s0
	s_waitcnt lgkmcnt(0)
	s_barrier
	buffer_gl0_inv
	s_and_saveexec_b32 s0, s2
	s_cbranch_execz .LBB13_16
; %bb.15:
	ds_load_b32 v3, v3 offset:768
	v_lshlrev_b64 v[0:1], 2, v[1:2]
	s_delay_alu instid0(VALU_DEP_1) | instskip(NEXT) | instid1(VALU_DEP_2)
	v_add_co_u32 v0, vcc_lo, s4, v0
	v_add_co_ci_u32_e32 v1, vcc_lo, s5, v1, vcc_lo
	s_waitcnt lgkmcnt(0)
	global_store_b32 v[0:1], v3, off
.LBB13_16:
	s_nop 0
	s_sendmsg sendmsg(MSG_DEALLOC_VGPRS)
	s_endpgm
	.section	.rodata,"a",@progbits
	.p2align	6, 0x0
	.amdhsa_kernel _ZN9rocsparseL44gtsv_nopivot_strided_batch_pcr_shared_kernelILj64EfEEviiiPKT0_S3_S3_PS1_
		.amdhsa_group_segment_fixed_size 1280
		.amdhsa_private_segment_fixed_size 0
		.amdhsa_kernarg_size 48
		.amdhsa_user_sgpr_count 15
		.amdhsa_user_sgpr_dispatch_ptr 0
		.amdhsa_user_sgpr_queue_ptr 0
		.amdhsa_user_sgpr_kernarg_segment_ptr 1
		.amdhsa_user_sgpr_dispatch_id 0
		.amdhsa_user_sgpr_private_segment_size 0
		.amdhsa_wavefront_size32 1
		.amdhsa_uses_dynamic_stack 0
		.amdhsa_enable_private_segment 0
		.amdhsa_system_sgpr_workgroup_id_x 1
		.amdhsa_system_sgpr_workgroup_id_y 0
		.amdhsa_system_sgpr_workgroup_id_z 0
		.amdhsa_system_sgpr_workgroup_info 0
		.amdhsa_system_vgpr_workitem_id 0
		.amdhsa_next_free_vgpr 27
		.amdhsa_next_free_sgpr 16
		.amdhsa_reserve_vcc 1
		.amdhsa_float_round_mode_32 0
		.amdhsa_float_round_mode_16_64 0
		.amdhsa_float_denorm_mode_32 3
		.amdhsa_float_denorm_mode_16_64 3
		.amdhsa_dx10_clamp 1
		.amdhsa_ieee_mode 1
		.amdhsa_fp16_overflow 0
		.amdhsa_workgroup_processor_mode 1
		.amdhsa_memory_ordered 1
		.amdhsa_forward_progress 0
		.amdhsa_shared_vgpr_count 0
		.amdhsa_exception_fp_ieee_invalid_op 0
		.amdhsa_exception_fp_denorm_src 0
		.amdhsa_exception_fp_ieee_div_zero 0
		.amdhsa_exception_fp_ieee_overflow 0
		.amdhsa_exception_fp_ieee_underflow 0
		.amdhsa_exception_fp_ieee_inexact 0
		.amdhsa_exception_int_div_zero 0
	.end_amdhsa_kernel
	.section	.text._ZN9rocsparseL44gtsv_nopivot_strided_batch_pcr_shared_kernelILj64EfEEviiiPKT0_S3_S3_PS1_,"axG",@progbits,_ZN9rocsparseL44gtsv_nopivot_strided_batch_pcr_shared_kernelILj64EfEEviiiPKT0_S3_S3_PS1_,comdat
.Lfunc_end13:
	.size	_ZN9rocsparseL44gtsv_nopivot_strided_batch_pcr_shared_kernelILj64EfEEviiiPKT0_S3_S3_PS1_, .Lfunc_end13-_ZN9rocsparseL44gtsv_nopivot_strided_batch_pcr_shared_kernelILj64EfEEviiiPKT0_S3_S3_PS1_
                                        ; -- End function
	.section	.AMDGPU.csdata,"",@progbits
; Kernel info:
; codeLenInByte = 2872
; NumSgprs: 18
; NumVgprs: 27
; ScratchSize: 0
; MemoryBound: 0
; FloatMode: 240
; IeeeMode: 1
; LDSByteSize: 1280 bytes/workgroup (compile time only)
; SGPRBlocks: 2
; VGPRBlocks: 3
; NumSGPRsForWavesPerEU: 18
; NumVGPRsForWavesPerEU: 27
; Occupancy: 16
; WaveLimiterHint : 0
; COMPUTE_PGM_RSRC2:SCRATCH_EN: 0
; COMPUTE_PGM_RSRC2:USER_SGPR: 15
; COMPUTE_PGM_RSRC2:TRAP_HANDLER: 0
; COMPUTE_PGM_RSRC2:TGID_X_EN: 1
; COMPUTE_PGM_RSRC2:TGID_Y_EN: 0
; COMPUTE_PGM_RSRC2:TGID_Z_EN: 0
; COMPUTE_PGM_RSRC2:TIDIG_COMP_CNT: 0
	.section	.text._ZN9rocsparseL44gtsv_nopivot_strided_batch_pcr_shared_kernelILj128EfEEviiiPKT0_S3_S3_PS1_,"axG",@progbits,_ZN9rocsparseL44gtsv_nopivot_strided_batch_pcr_shared_kernelILj128EfEEviiiPKT0_S3_S3_PS1_,comdat
	.globl	_ZN9rocsparseL44gtsv_nopivot_strided_batch_pcr_shared_kernelILj128EfEEviiiPKT0_S3_S3_PS1_ ; -- Begin function _ZN9rocsparseL44gtsv_nopivot_strided_batch_pcr_shared_kernelILj128EfEEviiiPKT0_S3_S3_PS1_
	.p2align	8
	.type	_ZN9rocsparseL44gtsv_nopivot_strided_batch_pcr_shared_kernelILj128EfEEviiiPKT0_S3_S3_PS1_,@function
_ZN9rocsparseL44gtsv_nopivot_strided_batch_pcr_shared_kernelILj128EfEEviiiPKT0_S3_S3_PS1_: ; @_ZN9rocsparseL44gtsv_nopivot_strided_batch_pcr_shared_kernelILj128EfEEviiiPKT0_S3_S3_PS1_
; %bb.0:
	s_clause 0x1
	s_load_b32 s2, s[0:1], 0x8
	s_load_b32 s3, s[0:1], 0x0
	v_dual_mov_b32 v4, 0 :: v_dual_mov_b32 v5, 0
	s_waitcnt lgkmcnt(0)
	v_mad_u64_u32 v[1:2], null, s15, s2, v[0:1]
	v_cmp_gt_i32_e64 s2, s3, v0
	s_delay_alu instid0(VALU_DEP_2) | instskip(NEXT) | instid1(VALU_DEP_2)
	v_ashrrev_i32_e32 v2, 31, v1
	s_and_saveexec_b32 s4, s2
	s_cbranch_execz .LBB14_2
; %bb.1:
	s_load_b64 s[6:7], s[0:1], 0x10
	s_delay_alu instid0(VALU_DEP_1) | instskip(SKIP_1) | instid1(VALU_DEP_1)
	v_lshlrev_b64 v[5:6], 2, v[1:2]
	s_waitcnt lgkmcnt(0)
	v_add_co_u32 v5, vcc_lo, s6, v5
	s_delay_alu instid0(VALU_DEP_2)
	v_add_co_ci_u32_e32 v6, vcc_lo, s7, v6, vcc_lo
	global_load_b32 v5, v[5:6], off
.LBB14_2:
	s_or_b32 exec_lo, exec_lo, s4
	v_lshlrev_b32_e32 v3, 2, v0
	s_waitcnt vmcnt(0)
	ds_store_b32 v3, v5
	s_and_saveexec_b32 s4, s2
	s_cbranch_execz .LBB14_4
; %bb.3:
	s_load_b64 s[6:7], s[0:1], 0x18
	v_lshlrev_b64 v[4:5], 2, v[1:2]
	s_waitcnt lgkmcnt(0)
	s_delay_alu instid0(VALU_DEP_1) | instskip(NEXT) | instid1(VALU_DEP_2)
	v_add_co_u32 v4, vcc_lo, s6, v4
	v_add_co_ci_u32_e32 v5, vcc_lo, s7, v5, vcc_lo
	global_load_b32 v4, v[4:5], off
.LBB14_4:
	s_or_b32 exec_lo, exec_lo, s4
	s_load_b64 s[4:5], s[0:1], 0x28
	v_dual_mov_b32 v6, 0 :: v_dual_mov_b32 v7, 0
	s_waitcnt vmcnt(0)
	ds_store_b32 v3, v4 offset:512
	s_and_saveexec_b32 s6, s2
	s_cbranch_execz .LBB14_6
; %bb.5:
	s_load_b64 s[0:1], s[0:1], 0x20
	v_lshlrev_b64 v[4:5], 2, v[1:2]
	s_waitcnt lgkmcnt(0)
	s_delay_alu instid0(VALU_DEP_1) | instskip(NEXT) | instid1(VALU_DEP_2)
	v_add_co_u32 v4, vcc_lo, s0, v4
	v_add_co_ci_u32_e32 v5, vcc_lo, s1, v5, vcc_lo
	global_load_b32 v7, v[4:5], off
.LBB14_6:
	s_or_b32 exec_lo, exec_lo, s6
	v_or_b32_e32 v4, 0x200, v3
	v_or_b32_e32 v5, 0x400, v3
	s_waitcnt vmcnt(0)
	ds_store_b32 v3, v7 offset:1024
	s_and_saveexec_b32 s0, s2
	s_cbranch_execz .LBB14_8
; %bb.7:
	v_lshlrev_b64 v[6:7], 2, v[1:2]
	s_waitcnt lgkmcnt(0)
	s_delay_alu instid0(VALU_DEP_1) | instskip(NEXT) | instid1(VALU_DEP_2)
	v_add_co_u32 v6, vcc_lo, s4, v6
	v_add_co_ci_u32_e32 v7, vcc_lo, s5, v7, vcc_lo
	global_load_b32 v6, v[6:7], off
.LBB14_8:
	s_or_b32 exec_lo, exec_lo, s0
	s_waitcnt vmcnt(0)
	ds_store_b32 v3, v6 offset:2048
	v_add_nc_u32_e32 v6, 1, v0
	v_max_u32_e32 v7, 1, v0
	s_add_i32 s1, s3, -1
	s_waitcnt lgkmcnt(0)
	s_barrier
	v_cmp_gt_i32_e32 vcc_lo, s3, v6
	v_lshlrev_b32_e32 v10, 2, v7
	buffer_gl0_inv
	v_cndmask_b32_e32 v8, s1, v6, vcc_lo
	ds_load_2addr_b32 v[6:7], v10 offset0:127 offset1:255
	ds_load_b32 v12, v3
	v_add_nc_u32_e32 v14, -4, v10
	v_lshlrev_b32_e32 v11, 2, v8
	ds_load_b32 v13, v5
	ds_load_2addr_stride64_b32 v[8:9], v11 offset1:2
	ds_load_b32 v15, v3 offset:2048
	ds_load_b32 v16, v10 offset:2044
	ds_load_b32 v14, v14
	ds_load_b32 v18, v4
	s_waitcnt lgkmcnt(6)
	v_div_scale_f32 v10, null, v6, v6, v12
	v_div_scale_f32 v22, vcc_lo, v12, v6, v12
	s_delay_alu instid0(VALU_DEP_2) | instskip(SKIP_3) | instid1(VALU_DEP_2)
	v_rcp_f32_e32 v17, v10
	s_waitcnt lgkmcnt(4)
	v_div_scale_f32 v19, null, v9, v9, v13
	v_div_scale_f32 v24, s0, v13, v9, v13
	v_rcp_f32_e32 v20, v19
	s_waitcnt_depctr 0xfff
	v_fma_f32 v21, -v10, v17, 1.0
	s_delay_alu instid0(VALU_DEP_1) | instskip(SKIP_1) | instid1(VALU_DEP_1)
	v_fmac_f32_e32 v17, v21, v17
	v_fma_f32 v21, -v19, v20, 1.0
	v_dual_mul_f32 v23, v22, v17 :: v_dual_fmac_f32 v20, v21, v20
	s_delay_alu instid0(VALU_DEP_1) | instskip(NEXT) | instid1(VALU_DEP_2)
	v_fma_f32 v21, -v10, v23, v22
	v_mul_f32_e32 v25, v24, v20
	s_delay_alu instid0(VALU_DEP_2) | instskip(NEXT) | instid1(VALU_DEP_2)
	v_fmac_f32_e32 v23, v21, v17
	v_fma_f32 v21, -v19, v25, v24
	s_delay_alu instid0(VALU_DEP_2)
	v_fma_f32 v22, -v10, v23, v22
	ds_load_2addr_stride64_b32 v[10:11], v11 offset0:4 offset1:8
	s_waitcnt lgkmcnt(0)
	v_fmac_f32_e32 v25, v21, v20
	v_add_nc_u32_e32 v21, 2, v0
	v_div_fmas_f32 v17, v22, v17, v23
	s_mov_b32 vcc_lo, s0
	v_max_u32_e32 v22, 2, v0
	v_fma_f32 v19, -v19, v25, v24
	s_barrier
	v_div_fixup_f32 v6, v17, v6, v12
	buffer_gl0_inv
	v_div_fmas_f32 v12, v19, v20, v25
	v_cmp_gt_i32_e32 vcc_lo, s3, v21
	v_fma_f32 v7, -v6, v7, v18
	v_lshlrev_b32_e32 v19, 2, v22
	s_delay_alu instid0(VALU_DEP_4) | instskip(SKIP_3) | instid1(VALU_DEP_4)
	v_div_fixup_f32 v9, v12, v9, v13
	v_fma_f32 v12, -v6, v16, v15
	v_cndmask_b32_e32 v17, s1, v21, vcc_lo
	v_mul_f32_e64 v6, v6, -v14
	v_fma_f32 v7, -v9, v8, v7
	s_delay_alu instid0(VALU_DEP_4) | instskip(NEXT) | instid1(VALU_DEP_4)
	v_fma_f32 v11, -v9, v11, v12
	v_lshlrev_b32_e32 v13, 2, v17
	v_mul_f32_e64 v8, v9, -v10
	ds_store_b32 v3, v11 offset:2048
	ds_store_b32 v3, v6
	ds_store_b32 v4, v7
	ds_store_b32 v5, v8
	s_waitcnt lgkmcnt(0)
	s_barrier
	buffer_gl0_inv
	ds_load_2addr_b32 v[6:7], v19 offset0:126 offset1:254
	ds_load_b32 v12, v3
	ds_load_b32 v14, v5
	ds_load_2addr_stride64_b32 v[8:9], v13 offset1:2
	v_add_nc_u32_e32 v10, -8, v19
	ds_load_b32 v15, v3 offset:2048
	ds_load_b32 v16, v19 offset:2040
	ds_load_b32 v17, v4
	ds_load_b32 v18, v10
	s_waitcnt lgkmcnt(6)
	v_div_scale_f32 v10, null, v6, v6, v12
	s_waitcnt lgkmcnt(4)
	v_div_scale_f32 v19, null, v9, v9, v14
	v_div_scale_f32 v23, vcc_lo, v12, v6, v12
	s_delay_alu instid0(VALU_DEP_3) | instskip(NEXT) | instid1(VALU_DEP_2)
	v_rcp_f32_e32 v20, v10
	v_rcp_f32_e32 v21, v19
	v_div_scale_f32 v24, s0, v14, v9, v14
	s_waitcnt_depctr 0xfff
	v_fma_f32 v11, -v10, v20, 1.0
	v_fma_f32 v22, -v19, v21, 1.0
	s_delay_alu instid0(VALU_DEP_1) | instskip(NEXT) | instid1(VALU_DEP_1)
	v_dual_fmac_f32 v20, v11, v20 :: v_dual_fmac_f32 v21, v22, v21
	v_mul_f32_e32 v22, v23, v20
	s_delay_alu instid0(VALU_DEP_1) | instskip(NEXT) | instid1(VALU_DEP_1)
	v_fma_f32 v11, -v10, v22, v23
	v_dual_fmac_f32 v22, v11, v20 :: v_dual_mul_f32 v25, v24, v21
	s_delay_alu instid0(VALU_DEP_1) | instskip(NEXT) | instid1(VALU_DEP_2)
	v_fma_f32 v23, -v10, v22, v23
	v_fma_f32 v26, -v19, v25, v24
	ds_load_2addr_stride64_b32 v[10:11], v13 offset0:4 offset1:8
	s_waitcnt lgkmcnt(0)
	s_barrier
	buffer_gl0_inv
	v_dual_fmac_f32 v25, v26, v21 :: v_dual_add_nc_u32 v26, 4, v0
	s_delay_alu instid0(VALU_DEP_1) | instskip(SKIP_3) | instid1(VALU_DEP_3)
	v_fma_f32 v13, -v19, v25, v24
	v_div_fmas_f32 v19, v23, v20, v22
	s_mov_b32 vcc_lo, s0
	v_max_u32_e32 v20, 4, v0
	v_div_fmas_f32 v13, v13, v21, v25
	s_delay_alu instid0(VALU_DEP_3) | instskip(SKIP_1) | instid1(VALU_DEP_4)
	v_div_fixup_f32 v6, v19, v6, v12
	v_cmp_gt_i32_e32 vcc_lo, s3, v26
	v_lshlrev_b32_e32 v19, 2, v20
	s_delay_alu instid0(VALU_DEP_4) | instskip(NEXT) | instid1(VALU_DEP_4)
	v_div_fixup_f32 v9, v13, v9, v14
	v_fma_f32 v13, -v6, v16, v15
	v_fma_f32 v7, -v6, v7, v17
	v_cndmask_b32_e32 v12, s1, v26, vcc_lo
	v_mul_f32_e64 v6, v6, -v18
	s_delay_alu instid0(VALU_DEP_4) | instskip(NEXT) | instid1(VALU_DEP_4)
	v_fma_f32 v11, -v9, v11, v13
	v_fma_f32 v7, -v9, v8, v7
	s_delay_alu instid0(VALU_DEP_4)
	v_lshlrev_b32_e32 v12, 2, v12
	v_mul_f32_e64 v8, v9, -v10
	ds_store_b32 v3, v11 offset:2048
	ds_store_b32 v3, v6
	ds_store_b32 v4, v7
	;; [unrolled: 1-line block ×3, first 2 shown]
	s_waitcnt lgkmcnt(0)
	s_barrier
	buffer_gl0_inv
	ds_load_2addr_b32 v[6:7], v19 offset0:124 offset1:252
	ds_load_b32 v13, v3
	ds_load_b32 v14, v5
	ds_load_2addr_stride64_b32 v[8:9], v12 offset1:2
	v_add_nc_u32_e32 v10, -16, v19
	ds_load_b32 v15, v3 offset:2048
	ds_load_b32 v16, v19 offset:2032
	ds_load_b32 v17, v4
	ds_load_b32 v18, v10
	s_waitcnt lgkmcnt(6)
	v_div_scale_f32 v10, null, v6, v6, v13
	s_waitcnt lgkmcnt(4)
	v_div_scale_f32 v19, null, v9, v9, v14
	v_div_scale_f32 v24, s0, v14, v9, v14
	s_delay_alu instid0(VALU_DEP_3) | instskip(NEXT) | instid1(VALU_DEP_2)
	v_rcp_f32_e32 v20, v10
	v_rcp_f32_e32 v21, v19
	v_div_scale_f32 v23, vcc_lo, v13, v6, v13
	s_waitcnt_depctr 0xfff
	v_fma_f32 v11, -v10, v20, 1.0
	v_fma_f32 v22, -v19, v21, 1.0
	s_delay_alu instid0(VALU_DEP_1) | instskip(NEXT) | instid1(VALU_DEP_1)
	v_dual_fmac_f32 v21, v22, v21 :: v_dual_fmac_f32 v20, v11, v20
	v_mul_f32_e32 v25, v24, v21
	s_delay_alu instid0(VALU_DEP_1) | instskip(NEXT) | instid1(VALU_DEP_1)
	v_fma_f32 v26, -v19, v25, v24
	v_dual_mul_f32 v22, v23, v20 :: v_dual_fmac_f32 v25, v26, v21
	s_delay_alu instid0(VALU_DEP_1) | instskip(SKIP_1) | instid1(VALU_DEP_2)
	v_fma_f32 v11, -v10, v22, v23
	v_add_nc_u32_e32 v26, 8, v0
	v_fmac_f32_e32 v22, v11, v20
	s_delay_alu instid0(VALU_DEP_1)
	v_fma_f32 v23, -v10, v22, v23
	ds_load_2addr_stride64_b32 v[10:11], v12 offset0:4 offset1:8
	v_fma_f32 v12, -v19, v25, v24
	s_waitcnt lgkmcnt(0)
	s_barrier
	v_div_fmas_f32 v19, v23, v20, v22
	s_mov_b32 vcc_lo, s0
	v_max_u32_e32 v20, 8, v0
	v_div_fmas_f32 v12, v12, v21, v25
	v_cmp_gt_i32_e32 vcc_lo, s3, v26
	v_div_fixup_f32 v6, v19, v6, v13
	buffer_gl0_inv
	v_lshlrev_b32_e32 v19, 2, v20
	v_div_fixup_f32 v9, v12, v9, v14
	v_cndmask_b32_e32 v13, s1, v26, vcc_lo
	v_fma_f32 v12, -v6, v16, v15
	v_fma_f32 v7, -v6, v7, v17
	v_mul_f32_e64 v6, v6, -v18
	s_delay_alu instid0(VALU_DEP_4) | instskip(NEXT) | instid1(VALU_DEP_4)
	v_lshlrev_b32_e32 v13, 2, v13
	v_fma_f32 v11, -v9, v11, v12
	s_delay_alu instid0(VALU_DEP_4)
	v_fma_f32 v7, -v9, v8, v7
	v_mul_f32_e64 v8, v9, -v10
	ds_store_b32 v3, v11 offset:2048
	ds_store_b32 v3, v6
	ds_store_b32 v4, v7
	;; [unrolled: 1-line block ×3, first 2 shown]
	s_waitcnt lgkmcnt(0)
	s_barrier
	buffer_gl0_inv
	ds_load_2addr_b32 v[6:7], v19 offset0:120 offset1:248
	ds_load_b32 v12, v3
	ds_load_b32 v14, v5
	ds_load_2addr_stride64_b32 v[8:9], v13 offset1:2
	v_subrev_nc_u32_e32 v10, 32, v19
	ds_load_b32 v15, v3 offset:2048
	ds_load_b32 v16, v19 offset:2016
	ds_load_b32 v17, v4
	ds_load_b32 v18, v10
	s_waitcnt lgkmcnt(6)
	v_div_scale_f32 v10, null, v6, v6, v12
	s_waitcnt lgkmcnt(4)
	v_div_scale_f32 v19, null, v9, v9, v14
	v_div_scale_f32 v23, vcc_lo, v12, v6, v12
	s_delay_alu instid0(VALU_DEP_3) | instskip(NEXT) | instid1(VALU_DEP_2)
	v_rcp_f32_e32 v20, v10
	v_rcp_f32_e32 v21, v19
	v_div_scale_f32 v24, s0, v14, v9, v14
	s_waitcnt_depctr 0xfff
	v_fma_f32 v11, -v10, v20, 1.0
	v_fma_f32 v22, -v19, v21, 1.0
	s_delay_alu instid0(VALU_DEP_1) | instskip(NEXT) | instid1(VALU_DEP_1)
	v_dual_fmac_f32 v20, v11, v20 :: v_dual_fmac_f32 v21, v22, v21
	v_dual_mul_f32 v22, v23, v20 :: v_dual_mul_f32 v25, v24, v21
	s_delay_alu instid0(VALU_DEP_1) | instskip(NEXT) | instid1(VALU_DEP_2)
	v_fma_f32 v11, -v10, v22, v23
	v_fma_f32 v26, -v19, v25, v24
	s_delay_alu instid0(VALU_DEP_1) | instskip(SKIP_1) | instid1(VALU_DEP_2)
	v_dual_fmac_f32 v22, v11, v20 :: v_dual_fmac_f32 v25, v26, v21
	v_add_nc_u32_e32 v26, 16, v0
	v_fma_f32 v23, -v10, v22, v23
	ds_load_2addr_stride64_b32 v[10:11], v13 offset0:4 offset1:8
	v_fma_f32 v13, -v19, v25, v24
	s_waitcnt lgkmcnt(0)
	s_barrier
	v_div_fmas_f32 v19, v23, v20, v22
	s_mov_b32 vcc_lo, s0
	v_max_u32_e32 v20, 16, v0
	v_div_fmas_f32 v13, v13, v21, v25
	v_cmp_gt_i32_e32 vcc_lo, s3, v26
	v_div_fixup_f32 v6, v19, v6, v12
	buffer_gl0_inv
	v_lshlrev_b32_e32 v19, 2, v20
	v_div_fixup_f32 v9, v13, v9, v14
	v_cndmask_b32_e32 v12, s1, v26, vcc_lo
	v_fma_f32 v13, -v6, v16, v15
	v_fma_f32 v7, -v6, v7, v17
	v_mul_f32_e64 v6, v6, -v18
	s_delay_alu instid0(VALU_DEP_4) | instskip(NEXT) | instid1(VALU_DEP_4)
	v_lshlrev_b32_e32 v12, 2, v12
	v_fma_f32 v11, -v9, v11, v13
	s_delay_alu instid0(VALU_DEP_4)
	v_fma_f32 v7, -v9, v8, v7
	v_mul_f32_e64 v8, v9, -v10
	ds_store_b32 v3, v11 offset:2048
	ds_store_b32 v3, v6
	ds_store_b32 v4, v7
	;; [unrolled: 1-line block ×3, first 2 shown]
	s_waitcnt lgkmcnt(0)
	s_barrier
	buffer_gl0_inv
	ds_load_2addr_b32 v[6:7], v19 offset0:112 offset1:240
	ds_load_b32 v13, v3
	ds_load_b32 v14, v5
	ds_load_2addr_stride64_b32 v[8:9], v12 offset1:2
	v_subrev_nc_u32_e32 v10, 64, v19
	ds_load_b32 v15, v3 offset:2048
	ds_load_b32 v16, v19 offset:1984
	ds_load_b32 v17, v4
	ds_load_b32 v18, v10
	s_waitcnt lgkmcnt(6)
	v_div_scale_f32 v10, null, v6, v6, v13
	s_waitcnt lgkmcnt(4)
	v_div_scale_f32 v19, null, v9, v9, v14
	v_div_scale_f32 v24, s0, v14, v9, v14
	s_delay_alu instid0(VALU_DEP_3) | instskip(NEXT) | instid1(VALU_DEP_2)
	v_rcp_f32_e32 v20, v10
	v_rcp_f32_e32 v21, v19
	v_div_scale_f32 v23, vcc_lo, v13, v6, v13
	s_waitcnt_depctr 0xfff
	v_fma_f32 v11, -v10, v20, 1.0
	v_fma_f32 v22, -v19, v21, 1.0
	s_delay_alu instid0(VALU_DEP_1) | instskip(NEXT) | instid1(VALU_DEP_1)
	v_fmac_f32_e32 v21, v22, v21
	v_mul_f32_e32 v25, v24, v21
	s_delay_alu instid0(VALU_DEP_1) | instskip(NEXT) | instid1(VALU_DEP_1)
	v_fma_f32 v26, -v19, v25, v24
	v_dual_fmac_f32 v20, v11, v20 :: v_dual_fmac_f32 v25, v26, v21
	v_add_nc_u32_e32 v26, 32, v0
	s_delay_alu instid0(VALU_DEP_2) | instskip(NEXT) | instid1(VALU_DEP_1)
	v_mul_f32_e32 v22, v23, v20
	v_fma_f32 v11, -v10, v22, v23
	s_delay_alu instid0(VALU_DEP_1) | instskip(NEXT) | instid1(VALU_DEP_1)
	v_fmac_f32_e32 v22, v11, v20
	v_fma_f32 v23, -v10, v22, v23
	ds_load_2addr_stride64_b32 v[10:11], v12 offset0:4 offset1:8
	v_fma_f32 v12, -v19, v25, v24
	s_waitcnt lgkmcnt(0)
	s_barrier
	v_div_fmas_f32 v19, v23, v20, v22
	s_mov_b32 vcc_lo, s0
	v_max_u32_e32 v20, 32, v0
	v_div_fmas_f32 v12, v12, v21, v25
	v_cmp_gt_i32_e32 vcc_lo, s3, v26
	v_div_fixup_f32 v6, v19, v6, v13
	buffer_gl0_inv
	v_lshlrev_b32_e32 v19, 2, v20
	v_div_fixup_f32 v9, v12, v9, v14
	v_cndmask_b32_e32 v13, s1, v26, vcc_lo
	v_fma_f32 v12, -v6, v16, v15
	v_fma_f32 v7, -v6, v7, v17
	v_mul_f32_e64 v6, v6, -v18
	s_delay_alu instid0(VALU_DEP_4) | instskip(NEXT) | instid1(VALU_DEP_4)
	v_lshlrev_b32_e32 v13, 2, v13
	v_fma_f32 v11, -v9, v11, v12
	s_delay_alu instid0(VALU_DEP_4)
	v_fma_f32 v7, -v9, v8, v7
	v_mul_f32_e64 v8, v9, -v10
	ds_store_b32 v3, v11 offset:2048
	ds_store_b32 v3, v6
	ds_store_b32 v4, v7
	;; [unrolled: 1-line block ×3, first 2 shown]
	s_waitcnt lgkmcnt(0)
	s_barrier
	buffer_gl0_inv
	ds_load_2addr_b32 v[6:7], v19 offset0:96 offset1:224
	ds_load_b32 v12, v3
	ds_load_b32 v14, v5
	ds_load_2addr_stride64_b32 v[8:9], v13 offset1:2
	s_waitcnt lgkmcnt(2)
	v_div_scale_f32 v23, vcc_lo, v12, v6, v12
	v_add_nc_u32_e32 v10, 0xffffff80, v19
	ds_load_b32 v15, v3 offset:2048
	ds_load_b32 v16, v19 offset:1920
	ds_load_b32 v17, v4
	ds_load_b32 v18, v10
	v_div_scale_f32 v19, null, v6, v6, v12
	s_waitcnt lgkmcnt(4)
	v_div_scale_f32 v20, null, v9, v9, v14
	v_div_scale_f32 v24, s0, v14, v9, v14
	s_delay_alu instid0(VALU_DEP_3) | instskip(NEXT) | instid1(VALU_DEP_2)
	v_rcp_f32_e32 v21, v19
	v_rcp_f32_e32 v22, v20
	s_waitcnt_depctr 0xfff
	v_fma_f32 v10, -v19, v21, 1.0
	v_fma_f32 v11, -v20, v22, 1.0
	s_delay_alu instid0(VALU_DEP_1) | instskip(NEXT) | instid1(VALU_DEP_1)
	v_dual_fmac_f32 v21, v10, v21 :: v_dual_fmac_f32 v22, v11, v22
	v_dual_mul_f32 v25, v23, v21 :: v_dual_mul_f32 v26, v24, v22
	s_delay_alu instid0(VALU_DEP_1) | instskip(NEXT) | instid1(VALU_DEP_2)
	v_fma_f32 v10, -v19, v25, v23
	v_fma_f32 v11, -v20, v26, v24
	s_delay_alu instid0(VALU_DEP_1)
	v_dual_fmac_f32 v25, v10, v21 :: v_dual_fmac_f32 v26, v11, v22
	ds_load_2addr_stride64_b32 v[10:11], v13 offset0:4 offset1:8
	s_waitcnt lgkmcnt(0)
	s_barrier
	v_fma_f32 v13, -v19, v25, v23
	v_fma_f32 v19, -v20, v26, v24
	buffer_gl0_inv
	v_div_fmas_f32 v13, v13, v21, v25
	s_mov_b32 vcc_lo, s0
	s_mov_b32 s0, exec_lo
	v_div_fmas_f32 v19, v19, v22, v26
	s_delay_alu instid0(VALU_DEP_2) | instskip(NEXT) | instid1(VALU_DEP_2)
	v_div_fixup_f32 v6, v13, v6, v12
	v_div_fixup_f32 v9, v19, v9, v14
	s_delay_alu instid0(VALU_DEP_2) | instskip(SKIP_2) | instid1(VALU_DEP_3)
	v_fma_f32 v12, -v6, v16, v15
	v_fma_f32 v7, -v6, v7, v17
	v_mul_f32_e64 v6, v6, -v18
	v_fma_f32 v11, -v9, v11, v12
	s_delay_alu instid0(VALU_DEP_3)
	v_fma_f32 v7, -v9, v8, v7
	v_mul_f32_e64 v8, v9, -v10
	ds_store_b32 v3, v11 offset:2048
	ds_store_b32 v3, v6
	ds_store_b32 v4, v7
	;; [unrolled: 1-line block ×3, first 2 shown]
	s_waitcnt lgkmcnt(0)
	s_barrier
	buffer_gl0_inv
	v_cmpx_gt_u32_e32 64, v0
	s_cbranch_execz .LBB14_14
; %bb.9:
	v_or_b32_e32 v6, 64, v0
	v_or_b32_e32 v7, 0x800, v3
	s_mov_b32 s1, exec_lo
                                        ; implicit-def: $vgpr8
	s_delay_alu instid0(VALU_DEP_2)
	v_cmpx_le_i32_e64 s3, v6
	s_xor_b32 s1, exec_lo, s1
	s_cbranch_execz .LBB14_11
; %bb.10:
	ds_load_b32 v5, v7
	ds_load_b32 v4, v4
	s_waitcnt lgkmcnt(0)
	v_div_scale_f32 v6, null, v4, v4, v5
	s_delay_alu instid0(VALU_DEP_1) | instskip(SKIP_2) | instid1(VALU_DEP_1)
	v_rcp_f32_e32 v7, v6
	s_waitcnt_depctr 0xfff
	v_fma_f32 v8, -v6, v7, 1.0
	v_fmac_f32_e32 v7, v8, v7
	v_div_scale_f32 v8, vcc_lo, v5, v4, v5
	s_delay_alu instid0(VALU_DEP_1) | instskip(NEXT) | instid1(VALU_DEP_1)
	v_mul_f32_e32 v9, v8, v7
	v_fma_f32 v10, -v6, v9, v8
	s_delay_alu instid0(VALU_DEP_1) | instskip(NEXT) | instid1(VALU_DEP_1)
	v_fmac_f32_e32 v9, v10, v7
	v_fma_f32 v6, -v6, v9, v8
	s_delay_alu instid0(VALU_DEP_1) | instskip(NEXT) | instid1(VALU_DEP_1)
	v_div_fmas_f32 v6, v6, v7, v9
                                        ; implicit-def: $vgpr7
	v_div_fixup_f32 v8, v6, v4, v5
                                        ; implicit-def: $vgpr4
                                        ; implicit-def: $vgpr5
                                        ; implicit-def: $vgpr6
.LBB14_11:
	s_and_not1_saveexec_b32 s1, s1
	s_cbranch_execz .LBB14_13
; %bb.12:
	ds_load_b32 v0, v5
	ds_load_b32 v9, v3 offset:256
	ds_load_2addr_stride64_b32 v[4:5], v4 offset1:1
	s_waitcnt lgkmcnt(1)
	v_mul_f32_e32 v8, v0, v9
	s_waitcnt lgkmcnt(0)
	s_delay_alu instid0(VALU_DEP_1) | instskip(NEXT) | instid1(VALU_DEP_1)
	v_fma_f32 v10, v5, v4, -v8
	v_div_scale_f32 v11, null, v10, v10, 1.0
	v_div_scale_f32 v13, vcc_lo, 1.0, v10, 1.0
	s_delay_alu instid0(VALU_DEP_2) | instskip(SKIP_2) | instid1(VALU_DEP_1)
	v_rcp_f32_e32 v12, v11
	s_waitcnt_depctr 0xfff
	v_fma_f32 v8, -v11, v12, 1.0
	v_fmac_f32_e32 v12, v8, v12
	ds_load_2addr_stride64_b32 v[7:8], v7 offset1:1
	v_mul_f32_e32 v14, v13, v12
	s_delay_alu instid0(VALU_DEP_1) | instskip(NEXT) | instid1(VALU_DEP_1)
	v_fma_f32 v15, -v11, v14, v13
	v_fmac_f32_e32 v14, v15, v12
	s_delay_alu instid0(VALU_DEP_1) | instskip(SKIP_2) | instid1(VALU_DEP_2)
	v_fma_f32 v11, -v11, v14, v13
	s_waitcnt lgkmcnt(0)
	v_dual_mul_f32 v9, v9, v7 :: v_dual_mul_f32 v0, v0, v8
	v_div_fmas_f32 v11, v11, v12, v14
	s_delay_alu instid0(VALU_DEP_2) | instskip(NEXT) | instid1(VALU_DEP_3)
	v_fma_f32 v4, v4, v8, -v9
	v_fma_f32 v0, v5, v7, -v0
	s_delay_alu instid0(VALU_DEP_3) | instskip(NEXT) | instid1(VALU_DEP_1)
	v_div_fixup_f32 v5, v11, v10, 1.0
	v_dual_mul_f32 v7, v5, v0 :: v_dual_mov_b32 v0, v6
	s_delay_alu instid0(VALU_DEP_4)
	v_mul_f32_e32 v8, v5, v4
	ds_store_b32 v3, v7 offset:1536
.LBB14_13:
	s_or_b32 exec_lo, exec_lo, s1
	v_lshlrev_b32_e32 v0, 2, v0
	ds_store_b32 v0, v8 offset:1536
.LBB14_14:
	s_or_b32 exec_lo, exec_lo, s0
	s_waitcnt lgkmcnt(0)
	s_barrier
	buffer_gl0_inv
	s_and_saveexec_b32 s0, s2
	s_cbranch_execz .LBB14_16
; %bb.15:
	ds_load_b32 v3, v3 offset:1536
	v_lshlrev_b64 v[0:1], 2, v[1:2]
	s_delay_alu instid0(VALU_DEP_1) | instskip(NEXT) | instid1(VALU_DEP_2)
	v_add_co_u32 v0, vcc_lo, s4, v0
	v_add_co_ci_u32_e32 v1, vcc_lo, s5, v1, vcc_lo
	s_waitcnt lgkmcnt(0)
	global_store_b32 v[0:1], v3, off
.LBB14_16:
	s_nop 0
	s_sendmsg sendmsg(MSG_DEALLOC_VGPRS)
	s_endpgm
	.section	.rodata,"a",@progbits
	.p2align	6, 0x0
	.amdhsa_kernel _ZN9rocsparseL44gtsv_nopivot_strided_batch_pcr_shared_kernelILj128EfEEviiiPKT0_S3_S3_PS1_
		.amdhsa_group_segment_fixed_size 2560
		.amdhsa_private_segment_fixed_size 0
		.amdhsa_kernarg_size 48
		.amdhsa_user_sgpr_count 15
		.amdhsa_user_sgpr_dispatch_ptr 0
		.amdhsa_user_sgpr_queue_ptr 0
		.amdhsa_user_sgpr_kernarg_segment_ptr 1
		.amdhsa_user_sgpr_dispatch_id 0
		.amdhsa_user_sgpr_private_segment_size 0
		.amdhsa_wavefront_size32 1
		.amdhsa_uses_dynamic_stack 0
		.amdhsa_enable_private_segment 0
		.amdhsa_system_sgpr_workgroup_id_x 1
		.amdhsa_system_sgpr_workgroup_id_y 0
		.amdhsa_system_sgpr_workgroup_id_z 0
		.amdhsa_system_sgpr_workgroup_info 0
		.amdhsa_system_vgpr_workitem_id 0
		.amdhsa_next_free_vgpr 27
		.amdhsa_next_free_sgpr 16
		.amdhsa_reserve_vcc 1
		.amdhsa_float_round_mode_32 0
		.amdhsa_float_round_mode_16_64 0
		.amdhsa_float_denorm_mode_32 3
		.amdhsa_float_denorm_mode_16_64 3
		.amdhsa_dx10_clamp 1
		.amdhsa_ieee_mode 1
		.amdhsa_fp16_overflow 0
		.amdhsa_workgroup_processor_mode 1
		.amdhsa_memory_ordered 1
		.amdhsa_forward_progress 0
		.amdhsa_shared_vgpr_count 0
		.amdhsa_exception_fp_ieee_invalid_op 0
		.amdhsa_exception_fp_denorm_src 0
		.amdhsa_exception_fp_ieee_div_zero 0
		.amdhsa_exception_fp_ieee_overflow 0
		.amdhsa_exception_fp_ieee_underflow 0
		.amdhsa_exception_fp_ieee_inexact 0
		.amdhsa_exception_int_div_zero 0
	.end_amdhsa_kernel
	.section	.text._ZN9rocsparseL44gtsv_nopivot_strided_batch_pcr_shared_kernelILj128EfEEviiiPKT0_S3_S3_PS1_,"axG",@progbits,_ZN9rocsparseL44gtsv_nopivot_strided_batch_pcr_shared_kernelILj128EfEEviiiPKT0_S3_S3_PS1_,comdat
.Lfunc_end14:
	.size	_ZN9rocsparseL44gtsv_nopivot_strided_batch_pcr_shared_kernelILj128EfEEviiiPKT0_S3_S3_PS1_, .Lfunc_end14-_ZN9rocsparseL44gtsv_nopivot_strided_batch_pcr_shared_kernelILj128EfEEviiiPKT0_S3_S3_PS1_
                                        ; -- End function
	.section	.AMDGPU.csdata,"",@progbits
; Kernel info:
; codeLenInByte = 3260
; NumSgprs: 18
; NumVgprs: 27
; ScratchSize: 0
; MemoryBound: 0
; FloatMode: 240
; IeeeMode: 1
; LDSByteSize: 2560 bytes/workgroup (compile time only)
; SGPRBlocks: 2
; VGPRBlocks: 3
; NumSGPRsForWavesPerEU: 18
; NumVGPRsForWavesPerEU: 27
; Occupancy: 16
; WaveLimiterHint : 0
; COMPUTE_PGM_RSRC2:SCRATCH_EN: 0
; COMPUTE_PGM_RSRC2:USER_SGPR: 15
; COMPUTE_PGM_RSRC2:TRAP_HANDLER: 0
; COMPUTE_PGM_RSRC2:TGID_X_EN: 1
; COMPUTE_PGM_RSRC2:TGID_Y_EN: 0
; COMPUTE_PGM_RSRC2:TGID_Z_EN: 0
; COMPUTE_PGM_RSRC2:TIDIG_COMP_CNT: 0
	.section	.text._ZN9rocsparseL44gtsv_nopivot_strided_batch_pcr_shared_kernelILj256EfEEviiiPKT0_S3_S3_PS1_,"axG",@progbits,_ZN9rocsparseL44gtsv_nopivot_strided_batch_pcr_shared_kernelILj256EfEEviiiPKT0_S3_S3_PS1_,comdat
	.globl	_ZN9rocsparseL44gtsv_nopivot_strided_batch_pcr_shared_kernelILj256EfEEviiiPKT0_S3_S3_PS1_ ; -- Begin function _ZN9rocsparseL44gtsv_nopivot_strided_batch_pcr_shared_kernelILj256EfEEviiiPKT0_S3_S3_PS1_
	.p2align	8
	.type	_ZN9rocsparseL44gtsv_nopivot_strided_batch_pcr_shared_kernelILj256EfEEviiiPKT0_S3_S3_PS1_,@function
_ZN9rocsparseL44gtsv_nopivot_strided_batch_pcr_shared_kernelILj256EfEEviiiPKT0_S3_S3_PS1_: ; @_ZN9rocsparseL44gtsv_nopivot_strided_batch_pcr_shared_kernelILj256EfEEviiiPKT0_S3_S3_PS1_
; %bb.0:
	s_clause 0x1
	s_load_b32 s2, s[0:1], 0x8
	s_load_b32 s3, s[0:1], 0x0
	v_dual_mov_b32 v4, 0 :: v_dual_mov_b32 v5, 0
	s_waitcnt lgkmcnt(0)
	v_mad_u64_u32 v[1:2], null, s15, s2, v[0:1]
	v_cmp_gt_i32_e64 s2, s3, v0
	s_delay_alu instid0(VALU_DEP_2) | instskip(NEXT) | instid1(VALU_DEP_2)
	v_ashrrev_i32_e32 v2, 31, v1
	s_and_saveexec_b32 s4, s2
	s_cbranch_execz .LBB15_2
; %bb.1:
	s_load_b64 s[6:7], s[0:1], 0x10
	s_delay_alu instid0(VALU_DEP_1) | instskip(SKIP_1) | instid1(VALU_DEP_1)
	v_lshlrev_b64 v[5:6], 2, v[1:2]
	s_waitcnt lgkmcnt(0)
	v_add_co_u32 v5, vcc_lo, s6, v5
	s_delay_alu instid0(VALU_DEP_2)
	v_add_co_ci_u32_e32 v6, vcc_lo, s7, v6, vcc_lo
	global_load_b32 v5, v[5:6], off
.LBB15_2:
	s_or_b32 exec_lo, exec_lo, s4
	v_lshlrev_b32_e32 v3, 2, v0
	s_waitcnt vmcnt(0)
	ds_store_b32 v3, v5
	s_and_saveexec_b32 s4, s2
	s_cbranch_execz .LBB15_4
; %bb.3:
	s_load_b64 s[6:7], s[0:1], 0x18
	v_lshlrev_b64 v[4:5], 2, v[1:2]
	s_waitcnt lgkmcnt(0)
	s_delay_alu instid0(VALU_DEP_1) | instskip(NEXT) | instid1(VALU_DEP_2)
	v_add_co_u32 v4, vcc_lo, s6, v4
	v_add_co_ci_u32_e32 v5, vcc_lo, s7, v5, vcc_lo
	global_load_b32 v4, v[4:5], off
.LBB15_4:
	s_or_b32 exec_lo, exec_lo, s4
	s_load_b64 s[4:5], s[0:1], 0x28
	v_dual_mov_b32 v6, 0 :: v_dual_mov_b32 v7, 0
	s_waitcnt vmcnt(0)
	ds_store_b32 v3, v4 offset:1024
	s_and_saveexec_b32 s6, s2
	s_cbranch_execz .LBB15_6
; %bb.5:
	s_load_b64 s[0:1], s[0:1], 0x20
	v_lshlrev_b64 v[4:5], 2, v[1:2]
	s_waitcnt lgkmcnt(0)
	s_delay_alu instid0(VALU_DEP_1) | instskip(NEXT) | instid1(VALU_DEP_2)
	v_add_co_u32 v4, vcc_lo, s0, v4
	v_add_co_ci_u32_e32 v5, vcc_lo, s1, v5, vcc_lo
	global_load_b32 v7, v[4:5], off
.LBB15_6:
	s_or_b32 exec_lo, exec_lo, s6
	v_or_b32_e32 v4, 0x400, v3
	v_or_b32_e32 v5, 0x800, v3
	s_waitcnt vmcnt(0)
	ds_store_b32 v3, v7 offset:2048
	s_and_saveexec_b32 s0, s2
	s_cbranch_execz .LBB15_8
; %bb.7:
	v_lshlrev_b64 v[6:7], 2, v[1:2]
	s_waitcnt lgkmcnt(0)
	s_delay_alu instid0(VALU_DEP_1) | instskip(NEXT) | instid1(VALU_DEP_2)
	v_add_co_u32 v6, vcc_lo, s4, v6
	v_add_co_ci_u32_e32 v7, vcc_lo, s5, v7, vcc_lo
	global_load_b32 v6, v[6:7], off
.LBB15_8:
	s_or_b32 exec_lo, exec_lo, s0
	v_add_nc_u32_e32 v8, 1, v0
	v_max_u32_e32 v7, 1, v0
	s_add_i32 s1, s3, -1
	s_waitcnt vmcnt(0)
	ds_store_b32 v3, v6 offset:4096
	s_waitcnt lgkmcnt(0)
	v_cmp_gt_i32_e32 vcc_lo, s3, v8
	v_lshlrev_b32_e32 v10, 2, v7
	s_barrier
	buffer_gl0_inv
	v_max_u32_e32 v27, 4, v0
	v_cndmask_b32_e32 v7, s1, v8, vcc_lo
	v_add_nc_u32_e32 v6, 0xfc, v10
	v_add_nc_u32_e32 v14, -4, v10
	s_delay_alu instid0(VALU_DEP_3)
	v_lshlrev_b32_e32 v11, 2, v7
	ds_load_2addr_stride64_b32 v[6:7], v6 offset0:3 offset1:7
	ds_load_b32 v12, v3
	ds_load_b32 v13, v5
	ds_load_2addr_stride64_b32 v[8:9], v11 offset1:4
	ds_load_b32 v15, v3 offset:4096
	ds_load_b32 v16, v10 offset:4092
	ds_load_b32 v17, v4
	ds_load_b32 v14, v14
	s_waitcnt lgkmcnt(6)
	v_div_scale_f32 v10, null, v6, v6, v12
	s_waitcnt lgkmcnt(4)
	v_div_scale_f32 v18, null, v9, v9, v13
	v_div_scale_f32 v23, vcc_lo, v12, v6, v12
	s_delay_alu instid0(VALU_DEP_3) | instskip(NEXT) | instid1(VALU_DEP_2)
	v_rcp_f32_e32 v19, v10
	v_rcp_f32_e32 v20, v18
	s_waitcnt_depctr 0xfff
	v_fma_f32 v21, -v10, v19, 1.0
	v_fma_f32 v22, -v18, v20, 1.0
	s_delay_alu instid0(VALU_DEP_1) | instskip(SKIP_1) | instid1(VALU_DEP_2)
	v_dual_fmac_f32 v19, v21, v19 :: v_dual_fmac_f32 v20, v22, v20
	v_div_scale_f32 v21, s0, v13, v9, v13
	v_mul_f32_e32 v22, v23, v19
	s_delay_alu instid0(VALU_DEP_2) | instskip(NEXT) | instid1(VALU_DEP_2)
	v_mul_f32_e32 v24, v21, v20
	v_fma_f32 v25, -v10, v22, v23
	s_delay_alu instid0(VALU_DEP_2) | instskip(NEXT) | instid1(VALU_DEP_1)
	v_fma_f32 v26, -v18, v24, v21
	v_fmac_f32_e32 v24, v26, v20
	v_max_u32_e32 v26, 2, v0
	s_delay_alu instid0(VALU_DEP_2) | instskip(NEXT) | instid1(VALU_DEP_2)
	v_fma_f32 v18, -v18, v24, v21
	v_dual_fmac_f32 v22, v25, v19 :: v_dual_lshlrev_b32 v21, 2, v26
	v_add_nc_u32_e32 v25, 2, v0
	s_delay_alu instid0(VALU_DEP_2)
	v_fma_f32 v23, -v10, v22, v23
	ds_load_2addr_stride64_b32 v[10:11], v11 offset0:8 offset1:16
	s_waitcnt lgkmcnt(0)
	s_barrier
	buffer_gl0_inv
	v_div_fmas_f32 v19, v23, v19, v22
	s_mov_b32 vcc_lo, s0
	v_div_fmas_f32 v18, v18, v20, v24
	v_cmp_gt_i32_e32 vcc_lo, s3, v25
	s_delay_alu instid0(VALU_DEP_3) | instskip(SKIP_1) | instid1(VALU_DEP_4)
	v_div_fixup_f32 v6, v19, v6, v12
	v_add_nc_u32_e32 v19, 0xf8, v21
	v_div_fixup_f32 v9, v18, v9, v13
	v_cndmask_b32_e32 v12, s1, v25, vcc_lo
	s_delay_alu instid0(VALU_DEP_4) | instskip(SKIP_2) | instid1(VALU_DEP_4)
	v_fma_f32 v13, -v6, v16, v15
	v_fma_f32 v7, -v6, v7, v17
	v_mul_f32_e64 v6, v6, -v14
	v_lshlrev_b32_e32 v12, 2, v12
	s_delay_alu instid0(VALU_DEP_4) | instskip(NEXT) | instid1(VALU_DEP_4)
	v_fma_f32 v11, -v9, v11, v13
	v_fma_f32 v7, -v9, v8, v7
	v_mul_f32_e64 v8, v9, -v10
	ds_store_b32 v3, v11 offset:4096
	ds_store_b32 v3, v6
	ds_store_b32 v4, v7
	;; [unrolled: 1-line block ×3, first 2 shown]
	s_waitcnt lgkmcnt(0)
	s_barrier
	buffer_gl0_inv
	ds_load_2addr_stride64_b32 v[6:7], v19 offset0:3 offset1:7
	ds_load_b32 v13, v3
	ds_load_b32 v14, v5
	ds_load_2addr_stride64_b32 v[8:9], v12 offset1:4
	v_add_nc_u32_e32 v10, -8, v21
	ds_load_b32 v15, v3 offset:4096
	ds_load_b32 v16, v21 offset:4088
	ds_load_b32 v17, v4
	ds_load_b32 v18, v10
	s_waitcnt lgkmcnt(6)
	v_div_scale_f32 v10, null, v6, v6, v13
	s_waitcnt lgkmcnt(4)
	v_div_scale_f32 v19, null, v9, v9, v14
	v_div_scale_f32 v23, vcc_lo, v13, v6, v13
	s_delay_alu instid0(VALU_DEP_3) | instskip(NEXT) | instid1(VALU_DEP_2)
	v_rcp_f32_e32 v20, v10
	v_rcp_f32_e32 v21, v19
	v_div_scale_f32 v24, s0, v14, v9, v14
	s_waitcnt_depctr 0xfff
	v_fma_f32 v11, -v10, v20, 1.0
	v_fma_f32 v22, -v19, v21, 1.0
	s_delay_alu instid0(VALU_DEP_1) | instskip(NEXT) | instid1(VALU_DEP_1)
	v_dual_fmac_f32 v20, v11, v20 :: v_dual_fmac_f32 v21, v22, v21
	v_dual_mul_f32 v22, v23, v20 :: v_dual_mul_f32 v25, v24, v21
	s_delay_alu instid0(VALU_DEP_1) | instskip(NEXT) | instid1(VALU_DEP_2)
	v_fma_f32 v11, -v10, v22, v23
	v_fma_f32 v26, -v19, v25, v24
	s_delay_alu instid0(VALU_DEP_1) | instskip(SKIP_1) | instid1(VALU_DEP_2)
	v_dual_fmac_f32 v22, v11, v20 :: v_dual_fmac_f32 v25, v26, v21
	v_add_nc_u32_e32 v26, 4, v0
	v_fma_f32 v23, -v10, v22, v23
	ds_load_2addr_stride64_b32 v[10:11], v12 offset0:8 offset1:16
	v_fma_f32 v12, -v19, v25, v24
	s_waitcnt lgkmcnt(0)
	s_barrier
	v_div_fmas_f32 v19, v23, v20, v22
	s_mov_b32 vcc_lo, s0
	v_lshlrev_b32_e32 v20, 2, v27
	v_div_fmas_f32 v12, v12, v21, v25
	v_cmp_gt_i32_e32 vcc_lo, s3, v26
	v_div_fixup_f32 v6, v19, v6, v13
	buffer_gl0_inv
	v_add_nc_u32_e32 v19, 0xf0, v20
	v_div_fixup_f32 v9, v12, v9, v14
	v_cndmask_b32_e32 v13, s1, v26, vcc_lo
	v_fma_f32 v12, -v6, v16, v15
	v_fma_f32 v7, -v6, v7, v17
	v_mul_f32_e64 v6, v6, -v18
	v_max_u32_e32 v27, 8, v0
	v_lshlrev_b32_e32 v13, 2, v13
	v_fma_f32 v11, -v9, v11, v12
	v_fma_f32 v7, -v9, v8, v7
	v_mul_f32_e64 v8, v9, -v10
	ds_store_b32 v3, v11 offset:4096
	ds_store_b32 v3, v6
	ds_store_b32 v4, v7
	;; [unrolled: 1-line block ×3, first 2 shown]
	s_waitcnt lgkmcnt(0)
	s_barrier
	buffer_gl0_inv
	ds_load_2addr_stride64_b32 v[6:7], v19 offset0:3 offset1:7
	ds_load_b32 v12, v3
	ds_load_b32 v14, v5
	ds_load_2addr_stride64_b32 v[8:9], v13 offset1:4
	v_add_nc_u32_e32 v10, -16, v20
	ds_load_b32 v15, v3 offset:4096
	ds_load_b32 v16, v20 offset:4080
	ds_load_b32 v17, v4
	ds_load_b32 v18, v10
	s_waitcnt lgkmcnt(6)
	v_div_scale_f32 v10, null, v6, v6, v12
	s_waitcnt lgkmcnt(4)
	v_div_scale_f32 v19, null, v9, v9, v14
	v_div_scale_f32 v23, vcc_lo, v12, v6, v12
	s_delay_alu instid0(VALU_DEP_3) | instskip(NEXT) | instid1(VALU_DEP_2)
	v_rcp_f32_e32 v20, v10
	v_rcp_f32_e32 v21, v19
	v_div_scale_f32 v24, s0, v14, v9, v14
	s_waitcnt_depctr 0xfff
	v_fma_f32 v11, -v10, v20, 1.0
	v_fma_f32 v22, -v19, v21, 1.0
	s_delay_alu instid0(VALU_DEP_1) | instskip(NEXT) | instid1(VALU_DEP_1)
	v_dual_fmac_f32 v20, v11, v20 :: v_dual_fmac_f32 v21, v22, v21
	v_dual_mul_f32 v22, v23, v20 :: v_dual_mul_f32 v25, v24, v21
	s_delay_alu instid0(VALU_DEP_1) | instskip(NEXT) | instid1(VALU_DEP_2)
	v_fma_f32 v11, -v10, v22, v23
	v_fma_f32 v26, -v19, v25, v24
	s_delay_alu instid0(VALU_DEP_1) | instskip(SKIP_1) | instid1(VALU_DEP_2)
	v_dual_fmac_f32 v22, v11, v20 :: v_dual_fmac_f32 v25, v26, v21
	v_add_nc_u32_e32 v26, 8, v0
	v_fma_f32 v23, -v10, v22, v23
	ds_load_2addr_stride64_b32 v[10:11], v13 offset0:8 offset1:16
	v_fma_f32 v13, -v19, v25, v24
	s_waitcnt lgkmcnt(0)
	s_barrier
	v_div_fmas_f32 v19, v23, v20, v22
	s_mov_b32 vcc_lo, s0
	v_lshlrev_b32_e32 v20, 2, v27
	v_div_fmas_f32 v13, v13, v21, v25
	v_cmp_gt_i32_e32 vcc_lo, s3, v26
	v_div_fixup_f32 v6, v19, v6, v12
	buffer_gl0_inv
	v_add_nc_u32_e32 v19, 0xe0, v20
	v_div_fixup_f32 v9, v13, v9, v14
	v_cndmask_b32_e32 v12, s1, v26, vcc_lo
	v_fma_f32 v13, -v6, v16, v15
	v_fma_f32 v7, -v6, v7, v17
	v_mul_f32_e64 v6, v6, -v18
	v_max_u32_e32 v27, 16, v0
	v_lshlrev_b32_e32 v12, 2, v12
	v_fma_f32 v11, -v9, v11, v13
	v_fma_f32 v7, -v9, v8, v7
	v_mul_f32_e64 v8, v9, -v10
	ds_store_b32 v3, v11 offset:4096
	ds_store_b32 v3, v6
	ds_store_b32 v4, v7
	;; [unrolled: 1-line block ×3, first 2 shown]
	s_waitcnt lgkmcnt(0)
	s_barrier
	buffer_gl0_inv
	ds_load_2addr_stride64_b32 v[6:7], v19 offset0:3 offset1:7
	ds_load_b32 v13, v3
	ds_load_b32 v14, v5
	ds_load_2addr_stride64_b32 v[8:9], v12 offset1:4
	v_subrev_nc_u32_e32 v10, 32, v20
	ds_load_b32 v15, v3 offset:4096
	ds_load_b32 v16, v20 offset:4064
	ds_load_b32 v17, v4
	ds_load_b32 v18, v10
	s_waitcnt lgkmcnt(6)
	v_div_scale_f32 v10, null, v6, v6, v13
	s_waitcnt lgkmcnt(4)
	v_div_scale_f32 v19, null, v9, v9, v14
	v_div_scale_f32 v23, vcc_lo, v13, v6, v13
	s_delay_alu instid0(VALU_DEP_3) | instskip(NEXT) | instid1(VALU_DEP_2)
	v_rcp_f32_e32 v20, v10
	v_rcp_f32_e32 v21, v19
	v_div_scale_f32 v24, s0, v14, v9, v14
	s_waitcnt_depctr 0xfff
	v_fma_f32 v11, -v10, v20, 1.0
	v_fma_f32 v22, -v19, v21, 1.0
	s_delay_alu instid0(VALU_DEP_1) | instskip(NEXT) | instid1(VALU_DEP_1)
	v_dual_fmac_f32 v20, v11, v20 :: v_dual_fmac_f32 v21, v22, v21
	v_dual_mul_f32 v22, v23, v20 :: v_dual_mul_f32 v25, v24, v21
	s_delay_alu instid0(VALU_DEP_1) | instskip(NEXT) | instid1(VALU_DEP_2)
	v_fma_f32 v11, -v10, v22, v23
	v_fma_f32 v26, -v19, v25, v24
	s_delay_alu instid0(VALU_DEP_1) | instskip(SKIP_1) | instid1(VALU_DEP_2)
	v_dual_fmac_f32 v22, v11, v20 :: v_dual_fmac_f32 v25, v26, v21
	v_add_nc_u32_e32 v26, 16, v0
	v_fma_f32 v23, -v10, v22, v23
	ds_load_2addr_stride64_b32 v[10:11], v12 offset0:8 offset1:16
	v_fma_f32 v12, -v19, v25, v24
	s_waitcnt lgkmcnt(0)
	s_barrier
	v_div_fmas_f32 v19, v23, v20, v22
	s_mov_b32 vcc_lo, s0
	v_lshlrev_b32_e32 v20, 2, v27
	v_div_fmas_f32 v12, v12, v21, v25
	v_cmp_gt_i32_e32 vcc_lo, s3, v26
	v_div_fixup_f32 v6, v19, v6, v13
	buffer_gl0_inv
	v_add_nc_u32_e32 v19, 0xc0, v20
	v_div_fixup_f32 v9, v12, v9, v14
	v_cndmask_b32_e32 v13, s1, v26, vcc_lo
	v_fma_f32 v12, -v6, v16, v15
	v_fma_f32 v7, -v6, v7, v17
	v_mul_f32_e64 v6, v6, -v18
	v_max_u32_e32 v27, 32, v0
	v_lshlrev_b32_e32 v13, 2, v13
	v_fma_f32 v11, -v9, v11, v12
	v_fma_f32 v7, -v9, v8, v7
	v_mul_f32_e64 v8, v9, -v10
	ds_store_b32 v3, v11 offset:4096
	ds_store_b32 v3, v6
	ds_store_b32 v4, v7
	;; [unrolled: 1-line block ×3, first 2 shown]
	s_waitcnt lgkmcnt(0)
	s_barrier
	buffer_gl0_inv
	ds_load_2addr_stride64_b32 v[6:7], v19 offset0:3 offset1:7
	ds_load_b32 v12, v3
	ds_load_b32 v14, v5
	ds_load_2addr_stride64_b32 v[8:9], v13 offset1:4
	v_subrev_nc_u32_e32 v10, 64, v20
	ds_load_b32 v15, v3 offset:4096
	ds_load_b32 v16, v20 offset:4032
	ds_load_b32 v17, v4
	ds_load_b32 v18, v10
	s_waitcnt lgkmcnt(6)
	v_div_scale_f32 v10, null, v6, v6, v12
	s_waitcnt lgkmcnt(4)
	v_div_scale_f32 v19, null, v9, v9, v14
	v_div_scale_f32 v23, vcc_lo, v12, v6, v12
	s_delay_alu instid0(VALU_DEP_3) | instskip(NEXT) | instid1(VALU_DEP_2)
	v_rcp_f32_e32 v20, v10
	v_rcp_f32_e32 v21, v19
	v_div_scale_f32 v24, s0, v14, v9, v14
	s_waitcnt_depctr 0xfff
	v_fma_f32 v11, -v10, v20, 1.0
	v_fma_f32 v22, -v19, v21, 1.0
	s_delay_alu instid0(VALU_DEP_1) | instskip(NEXT) | instid1(VALU_DEP_1)
	v_dual_fmac_f32 v20, v11, v20 :: v_dual_fmac_f32 v21, v22, v21
	v_dual_mul_f32 v22, v23, v20 :: v_dual_mul_f32 v25, v24, v21
	s_delay_alu instid0(VALU_DEP_1) | instskip(NEXT) | instid1(VALU_DEP_2)
	v_fma_f32 v11, -v10, v22, v23
	v_fma_f32 v26, -v19, v25, v24
	s_delay_alu instid0(VALU_DEP_1) | instskip(SKIP_1) | instid1(VALU_DEP_2)
	v_dual_fmac_f32 v22, v11, v20 :: v_dual_fmac_f32 v25, v26, v21
	v_add_nc_u32_e32 v26, 32, v0
	v_fma_f32 v23, -v10, v22, v23
	ds_load_2addr_stride64_b32 v[10:11], v13 offset0:8 offset1:16
	v_fma_f32 v13, -v19, v25, v24
	s_waitcnt lgkmcnt(0)
	s_barrier
	v_div_fmas_f32 v19, v23, v20, v22
	s_mov_b32 vcc_lo, s0
	v_lshlrev_b32_e32 v20, 2, v27
	v_div_fmas_f32 v13, v13, v21, v25
	v_cmp_gt_i32_e32 vcc_lo, s3, v26
	v_div_fixup_f32 v6, v19, v6, v12
	buffer_gl0_inv
	v_add_nc_u32_e32 v19, 0x80, v20
	v_div_fixup_f32 v9, v13, v9, v14
	v_cndmask_b32_e32 v12, s1, v26, vcc_lo
	v_fma_f32 v13, -v6, v16, v15
	v_fma_f32 v7, -v6, v7, v17
	v_mul_f32_e64 v6, v6, -v18
	s_delay_alu instid0(VALU_DEP_4) | instskip(NEXT) | instid1(VALU_DEP_4)
	v_lshlrev_b32_e32 v12, 2, v12
	v_fma_f32 v11, -v9, v11, v13
	s_delay_alu instid0(VALU_DEP_4)
	v_fma_f32 v7, -v9, v8, v7
	v_mul_f32_e64 v8, v9, -v10
	ds_store_b32 v3, v11 offset:4096
	ds_store_b32 v3, v6
	ds_store_b32 v4, v7
	;; [unrolled: 1-line block ×3, first 2 shown]
	s_waitcnt lgkmcnt(0)
	s_barrier
	buffer_gl0_inv
	ds_load_2addr_stride64_b32 v[6:7], v19 offset0:3 offset1:7
	ds_load_b32 v13, v3
	ds_load_b32 v14, v5
	ds_load_2addr_stride64_b32 v[8:9], v12 offset1:4
	v_add_nc_u32_e32 v10, 0xffffff80, v20
	ds_load_b32 v15, v3 offset:4096
	ds_load_b32 v16, v20 offset:3968
	ds_load_b32 v17, v4
	ds_load_b32 v18, v10
	s_waitcnt lgkmcnt(6)
	v_div_scale_f32 v10, null, v6, v6, v13
	s_waitcnt lgkmcnt(4)
	v_div_scale_f32 v19, null, v9, v9, v14
	v_div_scale_f32 v23, vcc_lo, v13, v6, v13
	s_delay_alu instid0(VALU_DEP_3) | instskip(NEXT) | instid1(VALU_DEP_2)
	v_rcp_f32_e32 v20, v10
	v_rcp_f32_e32 v21, v19
	v_div_scale_f32 v24, s0, v14, v9, v14
	s_waitcnt_depctr 0xfff
	v_fma_f32 v11, -v10, v20, 1.0
	v_fma_f32 v22, -v19, v21, 1.0
	s_delay_alu instid0(VALU_DEP_1) | instskip(NEXT) | instid1(VALU_DEP_1)
	v_dual_fmac_f32 v20, v11, v20 :: v_dual_fmac_f32 v21, v22, v21
	v_dual_mul_f32 v22, v23, v20 :: v_dual_mul_f32 v25, v24, v21
	s_delay_alu instid0(VALU_DEP_1) | instskip(NEXT) | instid1(VALU_DEP_2)
	v_fma_f32 v11, -v10, v22, v23
	v_fma_f32 v26, -v19, v25, v24
	s_delay_alu instid0(VALU_DEP_1) | instskip(SKIP_1) | instid1(VALU_DEP_2)
	v_dual_fmac_f32 v22, v11, v20 :: v_dual_fmac_f32 v25, v26, v21
	v_add_nc_u32_e32 v26, 64, v0
	v_fma_f32 v23, -v10, v22, v23
	ds_load_2addr_stride64_b32 v[10:11], v12 offset0:8 offset1:16
	v_fma_f32 v12, -v19, v25, v24
	s_waitcnt lgkmcnt(0)
	s_barrier
	v_div_fmas_f32 v19, v23, v20, v22
	s_mov_b32 vcc_lo, s0
	v_max_u32_e32 v20, 64, v0
	v_div_fmas_f32 v12, v12, v21, v25
	v_cmp_gt_i32_e32 vcc_lo, s3, v26
	v_div_fixup_f32 v6, v19, v6, v13
	buffer_gl0_inv
	v_lshlrev_b32_e32 v19, 2, v20
	v_div_fixup_f32 v9, v12, v9, v14
	v_cndmask_b32_e32 v13, s1, v26, vcc_lo
	v_fma_f32 v12, -v6, v16, v15
	v_fma_f32 v7, -v6, v7, v17
	v_mul_f32_e64 v6, v6, -v18
	s_delay_alu instid0(VALU_DEP_4) | instskip(NEXT) | instid1(VALU_DEP_4)
	v_lshlrev_b32_e32 v13, 2, v13
	v_fma_f32 v11, -v9, v11, v12
	s_delay_alu instid0(VALU_DEP_4)
	v_fma_f32 v7, -v9, v8, v7
	v_mul_f32_e64 v8, v9, -v10
	ds_store_b32 v3, v11 offset:4096
	ds_store_b32 v3, v6
	ds_store_b32 v4, v7
	;; [unrolled: 1-line block ×3, first 2 shown]
	s_waitcnt lgkmcnt(0)
	s_barrier
	buffer_gl0_inv
	ds_load_2addr_stride64_b32 v[6:7], v19 offset0:3 offset1:7
	ds_load_b32 v12, v3
	ds_load_b32 v14, v5
	ds_load_2addr_stride64_b32 v[8:9], v13 offset1:4
	v_add_nc_u32_e32 v10, 0xffffff00, v19
	ds_load_b32 v15, v3 offset:4096
	ds_load_b32 v16, v19 offset:3840
	ds_load_b32 v17, v4
	ds_load_b32 v18, v10
	s_waitcnt lgkmcnt(6)
	v_div_scale_f32 v19, null, v6, v6, v12
	s_waitcnt lgkmcnt(4)
	v_div_scale_f32 v20, null, v9, v9, v14
	v_div_scale_f32 v23, vcc_lo, v12, v6, v12
	s_delay_alu instid0(VALU_DEP_3) | instskip(NEXT) | instid1(VALU_DEP_2)
	v_rcp_f32_e32 v21, v19
	v_rcp_f32_e32 v22, v20
	v_div_scale_f32 v24, s0, v14, v9, v14
	s_waitcnt_depctr 0xfff
	v_fma_f32 v10, -v19, v21, 1.0
	v_fma_f32 v11, -v20, v22, 1.0
	s_delay_alu instid0(VALU_DEP_1) | instskip(NEXT) | instid1(VALU_DEP_1)
	v_dual_fmac_f32 v21, v10, v21 :: v_dual_fmac_f32 v22, v11, v22
	v_dual_mul_f32 v25, v23, v21 :: v_dual_mul_f32 v26, v24, v22
	s_delay_alu instid0(VALU_DEP_1) | instskip(NEXT) | instid1(VALU_DEP_2)
	v_fma_f32 v10, -v19, v25, v23
	v_fma_f32 v11, -v20, v26, v24
	s_delay_alu instid0(VALU_DEP_1)
	v_dual_fmac_f32 v25, v10, v21 :: v_dual_fmac_f32 v26, v11, v22
	ds_load_2addr_stride64_b32 v[10:11], v13 offset0:8 offset1:16
	s_waitcnt lgkmcnt(0)
	s_barrier
	v_fma_f32 v13, -v19, v25, v23
	v_fma_f32 v19, -v20, v26, v24
	buffer_gl0_inv
	v_div_fmas_f32 v13, v13, v21, v25
	s_mov_b32 vcc_lo, s0
	s_mov_b32 s0, exec_lo
	v_div_fmas_f32 v19, v19, v22, v26
	s_delay_alu instid0(VALU_DEP_2) | instskip(NEXT) | instid1(VALU_DEP_2)
	v_div_fixup_f32 v6, v13, v6, v12
	v_div_fixup_f32 v9, v19, v9, v14
	s_delay_alu instid0(VALU_DEP_2) | instskip(SKIP_2) | instid1(VALU_DEP_3)
	v_fma_f32 v12, -v6, v16, v15
	v_fma_f32 v7, -v6, v7, v17
	v_mul_f32_e64 v6, v6, -v18
	v_fma_f32 v11, -v9, v11, v12
	s_delay_alu instid0(VALU_DEP_3)
	v_fma_f32 v7, -v9, v8, v7
	v_mul_f32_e64 v8, v9, -v10
	ds_store_b32 v3, v11 offset:4096
	ds_store_b32 v3, v6
	ds_store_b32 v4, v7
	;; [unrolled: 1-line block ×3, first 2 shown]
	s_waitcnt lgkmcnt(0)
	s_barrier
	buffer_gl0_inv
	v_cmpx_gt_u32_e32 0x80, v0
	s_cbranch_execz .LBB15_14
; %bb.9:
	v_or_b32_e32 v6, 0x80, v0
	v_or_b32_e32 v7, 0x1000, v3
	s_mov_b32 s1, exec_lo
                                        ; implicit-def: $vgpr8
	s_delay_alu instid0(VALU_DEP_2)
	v_cmpx_le_i32_e64 s3, v6
	s_xor_b32 s1, exec_lo, s1
	s_cbranch_execz .LBB15_11
; %bb.10:
	ds_load_b32 v5, v7
	ds_load_b32 v4, v4
	s_waitcnt lgkmcnt(0)
	v_div_scale_f32 v6, null, v4, v4, v5
	s_delay_alu instid0(VALU_DEP_1) | instskip(SKIP_2) | instid1(VALU_DEP_1)
	v_rcp_f32_e32 v7, v6
	s_waitcnt_depctr 0xfff
	v_fma_f32 v8, -v6, v7, 1.0
	v_fmac_f32_e32 v7, v8, v7
	v_div_scale_f32 v8, vcc_lo, v5, v4, v5
	s_delay_alu instid0(VALU_DEP_1) | instskip(NEXT) | instid1(VALU_DEP_1)
	v_mul_f32_e32 v9, v8, v7
	v_fma_f32 v10, -v6, v9, v8
	s_delay_alu instid0(VALU_DEP_1) | instskip(NEXT) | instid1(VALU_DEP_1)
	v_fmac_f32_e32 v9, v10, v7
	v_fma_f32 v6, -v6, v9, v8
	s_delay_alu instid0(VALU_DEP_1) | instskip(NEXT) | instid1(VALU_DEP_1)
	v_div_fmas_f32 v6, v6, v7, v9
                                        ; implicit-def: $vgpr7
	v_div_fixup_f32 v8, v6, v4, v5
                                        ; implicit-def: $vgpr4
                                        ; implicit-def: $vgpr5
                                        ; implicit-def: $vgpr6
.LBB15_11:
	s_and_not1_saveexec_b32 s1, s1
	s_cbranch_execz .LBB15_13
; %bb.12:
	ds_load_b32 v0, v5
	ds_load_b32 v9, v3 offset:512
	ds_load_2addr_stride64_b32 v[4:5], v4 offset1:2
	s_waitcnt lgkmcnt(1)
	v_mul_f32_e32 v8, v0, v9
	s_waitcnt lgkmcnt(0)
	s_delay_alu instid0(VALU_DEP_1) | instskip(NEXT) | instid1(VALU_DEP_1)
	v_fma_f32 v10, v5, v4, -v8
	v_div_scale_f32 v11, null, v10, v10, 1.0
	v_div_scale_f32 v13, vcc_lo, 1.0, v10, 1.0
	s_delay_alu instid0(VALU_DEP_2) | instskip(SKIP_2) | instid1(VALU_DEP_1)
	v_rcp_f32_e32 v12, v11
	s_waitcnt_depctr 0xfff
	v_fma_f32 v8, -v11, v12, 1.0
	v_fmac_f32_e32 v12, v8, v12
	ds_load_2addr_stride64_b32 v[7:8], v7 offset1:2
	v_mul_f32_e32 v14, v13, v12
	s_delay_alu instid0(VALU_DEP_1) | instskip(NEXT) | instid1(VALU_DEP_1)
	v_fma_f32 v15, -v11, v14, v13
	v_fmac_f32_e32 v14, v15, v12
	s_delay_alu instid0(VALU_DEP_1) | instskip(SKIP_2) | instid1(VALU_DEP_2)
	v_fma_f32 v11, -v11, v14, v13
	s_waitcnt lgkmcnt(0)
	v_dual_mul_f32 v9, v9, v7 :: v_dual_mul_f32 v0, v0, v8
	v_div_fmas_f32 v11, v11, v12, v14
	s_delay_alu instid0(VALU_DEP_2) | instskip(NEXT) | instid1(VALU_DEP_3)
	v_fma_f32 v4, v4, v8, -v9
	v_fma_f32 v0, v5, v7, -v0
	s_delay_alu instid0(VALU_DEP_3) | instskip(NEXT) | instid1(VALU_DEP_1)
	v_div_fixup_f32 v5, v11, v10, 1.0
	v_dual_mul_f32 v7, v5, v0 :: v_dual_mov_b32 v0, v6
	s_delay_alu instid0(VALU_DEP_4)
	v_mul_f32_e32 v8, v5, v4
	ds_store_b32 v3, v7 offset:3072
.LBB15_13:
	s_or_b32 exec_lo, exec_lo, s1
	v_lshlrev_b32_e32 v0, 2, v0
	ds_store_b32 v0, v8 offset:3072
.LBB15_14:
	s_or_b32 exec_lo, exec_lo, s0
	s_waitcnt lgkmcnt(0)
	s_barrier
	buffer_gl0_inv
	s_and_saveexec_b32 s0, s2
	s_cbranch_execz .LBB15_16
; %bb.15:
	ds_load_b32 v3, v3 offset:3072
	v_lshlrev_b64 v[0:1], 2, v[1:2]
	s_delay_alu instid0(VALU_DEP_1) | instskip(NEXT) | instid1(VALU_DEP_2)
	v_add_co_u32 v0, vcc_lo, s4, v0
	v_add_co_ci_u32_e32 v1, vcc_lo, s5, v1, vcc_lo
	s_waitcnt lgkmcnt(0)
	global_store_b32 v[0:1], v3, off
.LBB15_16:
	s_nop 0
	s_sendmsg sendmsg(MSG_DEALLOC_VGPRS)
	s_endpgm
	.section	.rodata,"a",@progbits
	.p2align	6, 0x0
	.amdhsa_kernel _ZN9rocsparseL44gtsv_nopivot_strided_batch_pcr_shared_kernelILj256EfEEviiiPKT0_S3_S3_PS1_
		.amdhsa_group_segment_fixed_size 5120
		.amdhsa_private_segment_fixed_size 0
		.amdhsa_kernarg_size 48
		.amdhsa_user_sgpr_count 15
		.amdhsa_user_sgpr_dispatch_ptr 0
		.amdhsa_user_sgpr_queue_ptr 0
		.amdhsa_user_sgpr_kernarg_segment_ptr 1
		.amdhsa_user_sgpr_dispatch_id 0
		.amdhsa_user_sgpr_private_segment_size 0
		.amdhsa_wavefront_size32 1
		.amdhsa_uses_dynamic_stack 0
		.amdhsa_enable_private_segment 0
		.amdhsa_system_sgpr_workgroup_id_x 1
		.amdhsa_system_sgpr_workgroup_id_y 0
		.amdhsa_system_sgpr_workgroup_id_z 0
		.amdhsa_system_sgpr_workgroup_info 0
		.amdhsa_system_vgpr_workitem_id 0
		.amdhsa_next_free_vgpr 28
		.amdhsa_next_free_sgpr 16
		.amdhsa_reserve_vcc 1
		.amdhsa_float_round_mode_32 0
		.amdhsa_float_round_mode_16_64 0
		.amdhsa_float_denorm_mode_32 3
		.amdhsa_float_denorm_mode_16_64 3
		.amdhsa_dx10_clamp 1
		.amdhsa_ieee_mode 1
		.amdhsa_fp16_overflow 0
		.amdhsa_workgroup_processor_mode 1
		.amdhsa_memory_ordered 1
		.amdhsa_forward_progress 0
		.amdhsa_shared_vgpr_count 0
		.amdhsa_exception_fp_ieee_invalid_op 0
		.amdhsa_exception_fp_denorm_src 0
		.amdhsa_exception_fp_ieee_div_zero 0
		.amdhsa_exception_fp_ieee_overflow 0
		.amdhsa_exception_fp_ieee_underflow 0
		.amdhsa_exception_fp_ieee_inexact 0
		.amdhsa_exception_int_div_zero 0
	.end_amdhsa_kernel
	.section	.text._ZN9rocsparseL44gtsv_nopivot_strided_batch_pcr_shared_kernelILj256EfEEviiiPKT0_S3_S3_PS1_,"axG",@progbits,_ZN9rocsparseL44gtsv_nopivot_strided_batch_pcr_shared_kernelILj256EfEEviiiPKT0_S3_S3_PS1_,comdat
.Lfunc_end15:
	.size	_ZN9rocsparseL44gtsv_nopivot_strided_batch_pcr_shared_kernelILj256EfEEviiiPKT0_S3_S3_PS1_, .Lfunc_end15-_ZN9rocsparseL44gtsv_nopivot_strided_batch_pcr_shared_kernelILj256EfEEviiiPKT0_S3_S3_PS1_
                                        ; -- End function
	.section	.AMDGPU.csdata,"",@progbits
; Kernel info:
; codeLenInByte = 3684
; NumSgprs: 18
; NumVgprs: 28
; ScratchSize: 0
; MemoryBound: 0
; FloatMode: 240
; IeeeMode: 1
; LDSByteSize: 5120 bytes/workgroup (compile time only)
; SGPRBlocks: 2
; VGPRBlocks: 3
; NumSGPRsForWavesPerEU: 18
; NumVGPRsForWavesPerEU: 28
; Occupancy: 16
; WaveLimiterHint : 0
; COMPUTE_PGM_RSRC2:SCRATCH_EN: 0
; COMPUTE_PGM_RSRC2:USER_SGPR: 15
; COMPUTE_PGM_RSRC2:TRAP_HANDLER: 0
; COMPUTE_PGM_RSRC2:TGID_X_EN: 1
; COMPUTE_PGM_RSRC2:TGID_Y_EN: 0
; COMPUTE_PGM_RSRC2:TGID_Z_EN: 0
; COMPUTE_PGM_RSRC2:TIDIG_COMP_CNT: 0
	.section	.text._ZN9rocsparseL44gtsv_nopivot_strided_batch_pcr_shared_kernelILj512EfEEviiiPKT0_S3_S3_PS1_,"axG",@progbits,_ZN9rocsparseL44gtsv_nopivot_strided_batch_pcr_shared_kernelILj512EfEEviiiPKT0_S3_S3_PS1_,comdat
	.globl	_ZN9rocsparseL44gtsv_nopivot_strided_batch_pcr_shared_kernelILj512EfEEviiiPKT0_S3_S3_PS1_ ; -- Begin function _ZN9rocsparseL44gtsv_nopivot_strided_batch_pcr_shared_kernelILj512EfEEviiiPKT0_S3_S3_PS1_
	.p2align	8
	.type	_ZN9rocsparseL44gtsv_nopivot_strided_batch_pcr_shared_kernelILj512EfEEviiiPKT0_S3_S3_PS1_,@function
_ZN9rocsparseL44gtsv_nopivot_strided_batch_pcr_shared_kernelILj512EfEEviiiPKT0_S3_S3_PS1_: ; @_ZN9rocsparseL44gtsv_nopivot_strided_batch_pcr_shared_kernelILj512EfEEviiiPKT0_S3_S3_PS1_
; %bb.0:
	s_clause 0x1
	s_load_b32 s2, s[0:1], 0x8
	s_load_b32 s3, s[0:1], 0x0
	v_dual_mov_b32 v4, 0 :: v_dual_mov_b32 v5, 0
	s_waitcnt lgkmcnt(0)
	v_mad_u64_u32 v[1:2], null, s15, s2, v[0:1]
	v_cmp_gt_i32_e64 s2, s3, v0
	s_delay_alu instid0(VALU_DEP_2) | instskip(NEXT) | instid1(VALU_DEP_2)
	v_ashrrev_i32_e32 v2, 31, v1
	s_and_saveexec_b32 s4, s2
	s_cbranch_execz .LBB16_2
; %bb.1:
	s_load_b64 s[6:7], s[0:1], 0x10
	s_delay_alu instid0(VALU_DEP_1) | instskip(SKIP_1) | instid1(VALU_DEP_1)
	v_lshlrev_b64 v[5:6], 2, v[1:2]
	s_waitcnt lgkmcnt(0)
	v_add_co_u32 v5, vcc_lo, s6, v5
	s_delay_alu instid0(VALU_DEP_2)
	v_add_co_ci_u32_e32 v6, vcc_lo, s7, v6, vcc_lo
	global_load_b32 v5, v[5:6], off
.LBB16_2:
	s_or_b32 exec_lo, exec_lo, s4
	v_lshlrev_b32_e32 v3, 2, v0
	s_waitcnt vmcnt(0)
	ds_store_b32 v3, v5
	s_and_saveexec_b32 s4, s2
	s_cbranch_execz .LBB16_4
; %bb.3:
	s_load_b64 s[6:7], s[0:1], 0x18
	v_lshlrev_b64 v[4:5], 2, v[1:2]
	s_waitcnt lgkmcnt(0)
	s_delay_alu instid0(VALU_DEP_1) | instskip(NEXT) | instid1(VALU_DEP_2)
	v_add_co_u32 v4, vcc_lo, s6, v4
	v_add_co_ci_u32_e32 v5, vcc_lo, s7, v5, vcc_lo
	global_load_b32 v4, v[4:5], off
.LBB16_4:
	s_or_b32 exec_lo, exec_lo, s4
	s_load_b64 s[4:5], s[0:1], 0x28
	v_dual_mov_b32 v6, 0 :: v_dual_mov_b32 v7, 0
	s_waitcnt vmcnt(0)
	ds_store_b32 v3, v4 offset:2048
	s_and_saveexec_b32 s6, s2
	s_cbranch_execz .LBB16_6
; %bb.5:
	s_load_b64 s[0:1], s[0:1], 0x20
	v_lshlrev_b64 v[4:5], 2, v[1:2]
	s_waitcnt lgkmcnt(0)
	s_delay_alu instid0(VALU_DEP_1) | instskip(NEXT) | instid1(VALU_DEP_2)
	v_add_co_u32 v4, vcc_lo, s0, v4
	v_add_co_ci_u32_e32 v5, vcc_lo, s1, v5, vcc_lo
	global_load_b32 v7, v[4:5], off
.LBB16_6:
	s_or_b32 exec_lo, exec_lo, s6
	v_or_b32_e32 v4, 0x800, v3
	v_or_b32_e32 v5, 0x1000, v3
	s_waitcnt vmcnt(0)
	ds_store_b32 v3, v7 offset:4096
	s_and_saveexec_b32 s0, s2
	s_cbranch_execz .LBB16_8
; %bb.7:
	v_lshlrev_b64 v[6:7], 2, v[1:2]
	s_waitcnt lgkmcnt(0)
	s_delay_alu instid0(VALU_DEP_1) | instskip(NEXT) | instid1(VALU_DEP_2)
	v_add_co_u32 v6, vcc_lo, s4, v6
	v_add_co_ci_u32_e32 v7, vcc_lo, s5, v7, vcc_lo
	global_load_b32 v6, v[6:7], off
.LBB16_8:
	s_or_b32 exec_lo, exec_lo, s0
	v_add_nc_u32_e32 v8, 1, v0
	v_max_u32_e32 v7, 1, v0
	s_add_i32 s1, s3, -1
	s_waitcnt vmcnt(0)
	ds_store_b32 v3, v6 offset:8192
	s_waitcnt lgkmcnt(0)
	v_cmp_gt_i32_e32 vcc_lo, s3, v8
	v_lshlrev_b32_e32 v10, 2, v7
	s_barrier
	buffer_gl0_inv
	v_max_u32_e32 v27, 4, v0
	v_cndmask_b32_e32 v7, s1, v8, vcc_lo
	v_add_nc_u32_e32 v6, 0xfc, v10
	v_add_nc_u32_e32 v14, -4, v10
	s_delay_alu instid0(VALU_DEP_3)
	v_lshlrev_b32_e32 v11, 2, v7
	ds_load_2addr_stride64_b32 v[6:7], v6 offset0:7 offset1:15
	ds_load_b32 v12, v3
	ds_load_b32 v13, v5
	ds_load_2addr_stride64_b32 v[8:9], v11 offset1:8
	ds_load_b32 v15, v3 offset:8192
	ds_load_b32 v16, v10 offset:8188
	ds_load_b32 v17, v4
	ds_load_b32 v14, v14
	s_waitcnt lgkmcnt(6)
	v_div_scale_f32 v10, null, v6, v6, v12
	s_waitcnt lgkmcnt(4)
	v_div_scale_f32 v18, null, v9, v9, v13
	v_div_scale_f32 v23, vcc_lo, v12, v6, v12
	s_delay_alu instid0(VALU_DEP_3) | instskip(NEXT) | instid1(VALU_DEP_2)
	v_rcp_f32_e32 v19, v10
	v_rcp_f32_e32 v20, v18
	s_waitcnt_depctr 0xfff
	v_fma_f32 v21, -v10, v19, 1.0
	v_fma_f32 v22, -v18, v20, 1.0
	s_delay_alu instid0(VALU_DEP_1) | instskip(SKIP_1) | instid1(VALU_DEP_2)
	v_dual_fmac_f32 v19, v21, v19 :: v_dual_fmac_f32 v20, v22, v20
	v_div_scale_f32 v21, s0, v13, v9, v13
	v_mul_f32_e32 v22, v23, v19
	s_delay_alu instid0(VALU_DEP_2) | instskip(NEXT) | instid1(VALU_DEP_2)
	v_mul_f32_e32 v24, v21, v20
	v_fma_f32 v25, -v10, v22, v23
	s_delay_alu instid0(VALU_DEP_2) | instskip(NEXT) | instid1(VALU_DEP_1)
	v_fma_f32 v26, -v18, v24, v21
	v_fmac_f32_e32 v24, v26, v20
	v_max_u32_e32 v26, 2, v0
	s_delay_alu instid0(VALU_DEP_2) | instskip(NEXT) | instid1(VALU_DEP_2)
	v_fma_f32 v18, -v18, v24, v21
	v_dual_fmac_f32 v22, v25, v19 :: v_dual_lshlrev_b32 v21, 2, v26
	v_add_nc_u32_e32 v25, 2, v0
	s_delay_alu instid0(VALU_DEP_2)
	v_fma_f32 v23, -v10, v22, v23
	ds_load_2addr_stride64_b32 v[10:11], v11 offset0:16 offset1:32
	s_waitcnt lgkmcnt(0)
	s_barrier
	buffer_gl0_inv
	v_div_fmas_f32 v19, v23, v19, v22
	s_mov_b32 vcc_lo, s0
	v_div_fmas_f32 v18, v18, v20, v24
	v_cmp_gt_i32_e32 vcc_lo, s3, v25
	s_delay_alu instid0(VALU_DEP_3) | instskip(SKIP_1) | instid1(VALU_DEP_4)
	v_div_fixup_f32 v6, v19, v6, v12
	v_add_nc_u32_e32 v19, 0xf8, v21
	v_div_fixup_f32 v9, v18, v9, v13
	v_cndmask_b32_e32 v12, s1, v25, vcc_lo
	s_delay_alu instid0(VALU_DEP_4) | instskip(SKIP_2) | instid1(VALU_DEP_4)
	v_fma_f32 v13, -v6, v16, v15
	v_fma_f32 v7, -v6, v7, v17
	v_mul_f32_e64 v6, v6, -v14
	v_lshlrev_b32_e32 v12, 2, v12
	s_delay_alu instid0(VALU_DEP_4) | instskip(NEXT) | instid1(VALU_DEP_4)
	v_fma_f32 v11, -v9, v11, v13
	v_fma_f32 v7, -v9, v8, v7
	v_mul_f32_e64 v8, v9, -v10
	ds_store_b32 v3, v11 offset:8192
	ds_store_b32 v3, v6
	ds_store_b32 v4, v7
	;; [unrolled: 1-line block ×3, first 2 shown]
	s_waitcnt lgkmcnt(0)
	s_barrier
	buffer_gl0_inv
	ds_load_2addr_stride64_b32 v[6:7], v19 offset0:7 offset1:15
	ds_load_b32 v13, v3
	ds_load_b32 v14, v5
	ds_load_2addr_stride64_b32 v[8:9], v12 offset1:8
	v_add_nc_u32_e32 v10, -8, v21
	ds_load_b32 v15, v3 offset:8192
	ds_load_b32 v16, v21 offset:8184
	ds_load_b32 v17, v4
	ds_load_b32 v18, v10
	s_waitcnt lgkmcnt(6)
	v_div_scale_f32 v10, null, v6, v6, v13
	s_waitcnt lgkmcnt(4)
	v_div_scale_f32 v19, null, v9, v9, v14
	v_div_scale_f32 v23, vcc_lo, v13, v6, v13
	s_delay_alu instid0(VALU_DEP_3) | instskip(NEXT) | instid1(VALU_DEP_2)
	v_rcp_f32_e32 v20, v10
	v_rcp_f32_e32 v21, v19
	v_div_scale_f32 v24, s0, v14, v9, v14
	s_waitcnt_depctr 0xfff
	v_fma_f32 v11, -v10, v20, 1.0
	v_fma_f32 v22, -v19, v21, 1.0
	s_delay_alu instid0(VALU_DEP_1) | instskip(NEXT) | instid1(VALU_DEP_1)
	v_dual_fmac_f32 v20, v11, v20 :: v_dual_fmac_f32 v21, v22, v21
	v_dual_mul_f32 v22, v23, v20 :: v_dual_mul_f32 v25, v24, v21
	s_delay_alu instid0(VALU_DEP_1) | instskip(NEXT) | instid1(VALU_DEP_2)
	v_fma_f32 v11, -v10, v22, v23
	v_fma_f32 v26, -v19, v25, v24
	s_delay_alu instid0(VALU_DEP_1) | instskip(SKIP_1) | instid1(VALU_DEP_2)
	v_dual_fmac_f32 v22, v11, v20 :: v_dual_fmac_f32 v25, v26, v21
	v_add_nc_u32_e32 v26, 4, v0
	v_fma_f32 v23, -v10, v22, v23
	ds_load_2addr_stride64_b32 v[10:11], v12 offset0:16 offset1:32
	v_fma_f32 v12, -v19, v25, v24
	s_waitcnt lgkmcnt(0)
	s_barrier
	v_div_fmas_f32 v19, v23, v20, v22
	s_mov_b32 vcc_lo, s0
	v_lshlrev_b32_e32 v20, 2, v27
	v_div_fmas_f32 v12, v12, v21, v25
	v_cmp_gt_i32_e32 vcc_lo, s3, v26
	v_div_fixup_f32 v6, v19, v6, v13
	buffer_gl0_inv
	v_add_nc_u32_e32 v19, 0xf0, v20
	v_div_fixup_f32 v9, v12, v9, v14
	v_cndmask_b32_e32 v13, s1, v26, vcc_lo
	v_fma_f32 v12, -v6, v16, v15
	v_fma_f32 v7, -v6, v7, v17
	v_mul_f32_e64 v6, v6, -v18
	v_max_u32_e32 v27, 8, v0
	v_lshlrev_b32_e32 v13, 2, v13
	v_fma_f32 v11, -v9, v11, v12
	v_fma_f32 v7, -v9, v8, v7
	v_mul_f32_e64 v8, v9, -v10
	ds_store_b32 v3, v11 offset:8192
	ds_store_b32 v3, v6
	ds_store_b32 v4, v7
	;; [unrolled: 1-line block ×3, first 2 shown]
	s_waitcnt lgkmcnt(0)
	s_barrier
	buffer_gl0_inv
	ds_load_2addr_stride64_b32 v[6:7], v19 offset0:7 offset1:15
	ds_load_b32 v12, v3
	ds_load_b32 v14, v5
	ds_load_2addr_stride64_b32 v[8:9], v13 offset1:8
	v_add_nc_u32_e32 v10, -16, v20
	ds_load_b32 v15, v3 offset:8192
	ds_load_b32 v16, v20 offset:8176
	ds_load_b32 v17, v4
	ds_load_b32 v18, v10
	s_waitcnt lgkmcnt(6)
	v_div_scale_f32 v10, null, v6, v6, v12
	s_waitcnt lgkmcnt(4)
	v_div_scale_f32 v19, null, v9, v9, v14
	v_div_scale_f32 v23, vcc_lo, v12, v6, v12
	s_delay_alu instid0(VALU_DEP_3) | instskip(NEXT) | instid1(VALU_DEP_2)
	v_rcp_f32_e32 v20, v10
	v_rcp_f32_e32 v21, v19
	v_div_scale_f32 v24, s0, v14, v9, v14
	s_waitcnt_depctr 0xfff
	v_fma_f32 v11, -v10, v20, 1.0
	v_fma_f32 v22, -v19, v21, 1.0
	s_delay_alu instid0(VALU_DEP_1) | instskip(NEXT) | instid1(VALU_DEP_1)
	v_dual_fmac_f32 v20, v11, v20 :: v_dual_fmac_f32 v21, v22, v21
	v_dual_mul_f32 v22, v23, v20 :: v_dual_mul_f32 v25, v24, v21
	s_delay_alu instid0(VALU_DEP_1) | instskip(NEXT) | instid1(VALU_DEP_2)
	v_fma_f32 v11, -v10, v22, v23
	v_fma_f32 v26, -v19, v25, v24
	s_delay_alu instid0(VALU_DEP_1) | instskip(SKIP_1) | instid1(VALU_DEP_2)
	v_dual_fmac_f32 v22, v11, v20 :: v_dual_fmac_f32 v25, v26, v21
	v_add_nc_u32_e32 v26, 8, v0
	v_fma_f32 v23, -v10, v22, v23
	ds_load_2addr_stride64_b32 v[10:11], v13 offset0:16 offset1:32
	v_fma_f32 v13, -v19, v25, v24
	s_waitcnt lgkmcnt(0)
	s_barrier
	v_div_fmas_f32 v19, v23, v20, v22
	s_mov_b32 vcc_lo, s0
	v_lshlrev_b32_e32 v20, 2, v27
	v_div_fmas_f32 v13, v13, v21, v25
	v_cmp_gt_i32_e32 vcc_lo, s3, v26
	v_div_fixup_f32 v6, v19, v6, v12
	buffer_gl0_inv
	v_add_nc_u32_e32 v19, 0xe0, v20
	v_div_fixup_f32 v9, v13, v9, v14
	v_cndmask_b32_e32 v12, s1, v26, vcc_lo
	v_fma_f32 v13, -v6, v16, v15
	v_fma_f32 v7, -v6, v7, v17
	v_mul_f32_e64 v6, v6, -v18
	v_max_u32_e32 v27, 16, v0
	v_lshlrev_b32_e32 v12, 2, v12
	v_fma_f32 v11, -v9, v11, v13
	v_fma_f32 v7, -v9, v8, v7
	v_mul_f32_e64 v8, v9, -v10
	ds_store_b32 v3, v11 offset:8192
	ds_store_b32 v3, v6
	ds_store_b32 v4, v7
	ds_store_b32 v5, v8
	s_waitcnt lgkmcnt(0)
	s_barrier
	buffer_gl0_inv
	ds_load_2addr_stride64_b32 v[6:7], v19 offset0:7 offset1:15
	ds_load_b32 v13, v3
	ds_load_b32 v14, v5
	ds_load_2addr_stride64_b32 v[8:9], v12 offset1:8
	v_subrev_nc_u32_e32 v10, 32, v20
	ds_load_b32 v15, v3 offset:8192
	ds_load_b32 v16, v20 offset:8160
	ds_load_b32 v17, v4
	ds_load_b32 v18, v10
	s_waitcnt lgkmcnt(6)
	v_div_scale_f32 v10, null, v6, v6, v13
	s_waitcnt lgkmcnt(4)
	v_div_scale_f32 v19, null, v9, v9, v14
	v_div_scale_f32 v23, vcc_lo, v13, v6, v13
	s_delay_alu instid0(VALU_DEP_3) | instskip(NEXT) | instid1(VALU_DEP_2)
	v_rcp_f32_e32 v20, v10
	v_rcp_f32_e32 v21, v19
	v_div_scale_f32 v24, s0, v14, v9, v14
	s_waitcnt_depctr 0xfff
	v_fma_f32 v11, -v10, v20, 1.0
	v_fma_f32 v22, -v19, v21, 1.0
	s_delay_alu instid0(VALU_DEP_1) | instskip(NEXT) | instid1(VALU_DEP_1)
	v_dual_fmac_f32 v20, v11, v20 :: v_dual_fmac_f32 v21, v22, v21
	v_dual_mul_f32 v22, v23, v20 :: v_dual_mul_f32 v25, v24, v21
	s_delay_alu instid0(VALU_DEP_1) | instskip(NEXT) | instid1(VALU_DEP_2)
	v_fma_f32 v11, -v10, v22, v23
	v_fma_f32 v26, -v19, v25, v24
	s_delay_alu instid0(VALU_DEP_1) | instskip(SKIP_1) | instid1(VALU_DEP_2)
	v_dual_fmac_f32 v22, v11, v20 :: v_dual_fmac_f32 v25, v26, v21
	v_add_nc_u32_e32 v26, 16, v0
	v_fma_f32 v23, -v10, v22, v23
	ds_load_2addr_stride64_b32 v[10:11], v12 offset0:16 offset1:32
	v_fma_f32 v12, -v19, v25, v24
	s_waitcnt lgkmcnt(0)
	s_barrier
	v_div_fmas_f32 v19, v23, v20, v22
	s_mov_b32 vcc_lo, s0
	v_lshlrev_b32_e32 v20, 2, v27
	v_div_fmas_f32 v12, v12, v21, v25
	v_cmp_gt_i32_e32 vcc_lo, s3, v26
	v_div_fixup_f32 v6, v19, v6, v13
	buffer_gl0_inv
	v_add_nc_u32_e32 v19, 0xc0, v20
	v_div_fixup_f32 v9, v12, v9, v14
	v_cndmask_b32_e32 v13, s1, v26, vcc_lo
	v_fma_f32 v12, -v6, v16, v15
	v_fma_f32 v7, -v6, v7, v17
	v_mul_f32_e64 v6, v6, -v18
	v_max_u32_e32 v27, 32, v0
	v_lshlrev_b32_e32 v13, 2, v13
	v_fma_f32 v11, -v9, v11, v12
	v_fma_f32 v7, -v9, v8, v7
	v_mul_f32_e64 v8, v9, -v10
	ds_store_b32 v3, v11 offset:8192
	ds_store_b32 v3, v6
	ds_store_b32 v4, v7
	;; [unrolled: 1-line block ×3, first 2 shown]
	s_waitcnt lgkmcnt(0)
	s_barrier
	buffer_gl0_inv
	ds_load_2addr_stride64_b32 v[6:7], v19 offset0:7 offset1:15
	ds_load_b32 v12, v3
	ds_load_b32 v14, v5
	ds_load_2addr_stride64_b32 v[8:9], v13 offset1:8
	v_subrev_nc_u32_e32 v10, 64, v20
	ds_load_b32 v15, v3 offset:8192
	ds_load_b32 v16, v20 offset:8128
	ds_load_b32 v17, v4
	ds_load_b32 v18, v10
	s_waitcnt lgkmcnt(6)
	v_div_scale_f32 v10, null, v6, v6, v12
	s_waitcnt lgkmcnt(4)
	v_div_scale_f32 v19, null, v9, v9, v14
	v_div_scale_f32 v23, vcc_lo, v12, v6, v12
	s_delay_alu instid0(VALU_DEP_3) | instskip(NEXT) | instid1(VALU_DEP_2)
	v_rcp_f32_e32 v20, v10
	v_rcp_f32_e32 v21, v19
	v_div_scale_f32 v24, s0, v14, v9, v14
	s_waitcnt_depctr 0xfff
	v_fma_f32 v11, -v10, v20, 1.0
	v_fma_f32 v22, -v19, v21, 1.0
	s_delay_alu instid0(VALU_DEP_1) | instskip(NEXT) | instid1(VALU_DEP_1)
	v_dual_fmac_f32 v20, v11, v20 :: v_dual_fmac_f32 v21, v22, v21
	v_dual_mul_f32 v22, v23, v20 :: v_dual_mul_f32 v25, v24, v21
	s_delay_alu instid0(VALU_DEP_1) | instskip(NEXT) | instid1(VALU_DEP_2)
	v_fma_f32 v11, -v10, v22, v23
	v_fma_f32 v26, -v19, v25, v24
	s_delay_alu instid0(VALU_DEP_1) | instskip(SKIP_1) | instid1(VALU_DEP_2)
	v_dual_fmac_f32 v22, v11, v20 :: v_dual_fmac_f32 v25, v26, v21
	v_add_nc_u32_e32 v26, 32, v0
	v_fma_f32 v23, -v10, v22, v23
	ds_load_2addr_stride64_b32 v[10:11], v13 offset0:16 offset1:32
	v_fma_f32 v13, -v19, v25, v24
	s_waitcnt lgkmcnt(0)
	s_barrier
	v_div_fmas_f32 v19, v23, v20, v22
	s_mov_b32 vcc_lo, s0
	v_lshlrev_b32_e32 v20, 2, v27
	v_div_fmas_f32 v13, v13, v21, v25
	v_cmp_gt_i32_e32 vcc_lo, s3, v26
	v_div_fixup_f32 v6, v19, v6, v12
	buffer_gl0_inv
	v_add_nc_u32_e32 v19, 0x80, v20
	v_div_fixup_f32 v9, v13, v9, v14
	v_cndmask_b32_e32 v12, s1, v26, vcc_lo
	v_fma_f32 v13, -v6, v16, v15
	v_fma_f32 v7, -v6, v7, v17
	v_mul_f32_e64 v6, v6, -v18
	s_delay_alu instid0(VALU_DEP_4) | instskip(NEXT) | instid1(VALU_DEP_4)
	v_lshlrev_b32_e32 v12, 2, v12
	v_fma_f32 v11, -v9, v11, v13
	s_delay_alu instid0(VALU_DEP_4)
	v_fma_f32 v7, -v9, v8, v7
	v_mul_f32_e64 v8, v9, -v10
	ds_store_b32 v3, v11 offset:8192
	ds_store_b32 v3, v6
	ds_store_b32 v4, v7
	;; [unrolled: 1-line block ×3, first 2 shown]
	s_waitcnt lgkmcnt(0)
	s_barrier
	buffer_gl0_inv
	ds_load_2addr_stride64_b32 v[6:7], v19 offset0:7 offset1:15
	ds_load_b32 v13, v3
	ds_load_b32 v14, v5
	ds_load_2addr_stride64_b32 v[8:9], v12 offset1:8
	v_add_nc_u32_e32 v10, 0xffffff80, v20
	ds_load_b32 v15, v3 offset:8192
	ds_load_b32 v16, v20 offset:8064
	ds_load_b32 v17, v4
	ds_load_b32 v18, v10
	s_waitcnt lgkmcnt(6)
	v_div_scale_f32 v10, null, v6, v6, v13
	s_waitcnt lgkmcnt(4)
	v_div_scale_f32 v19, null, v9, v9, v14
	v_div_scale_f32 v23, vcc_lo, v13, v6, v13
	s_delay_alu instid0(VALU_DEP_3) | instskip(NEXT) | instid1(VALU_DEP_2)
	v_rcp_f32_e32 v20, v10
	v_rcp_f32_e32 v21, v19
	v_div_scale_f32 v24, s0, v14, v9, v14
	s_waitcnt_depctr 0xfff
	v_fma_f32 v11, -v10, v20, 1.0
	v_fma_f32 v22, -v19, v21, 1.0
	s_delay_alu instid0(VALU_DEP_1) | instskip(NEXT) | instid1(VALU_DEP_1)
	v_dual_fmac_f32 v20, v11, v20 :: v_dual_fmac_f32 v21, v22, v21
	v_dual_mul_f32 v22, v23, v20 :: v_dual_mul_f32 v25, v24, v21
	s_delay_alu instid0(VALU_DEP_1) | instskip(NEXT) | instid1(VALU_DEP_2)
	v_fma_f32 v11, -v10, v22, v23
	v_fma_f32 v26, -v19, v25, v24
	s_delay_alu instid0(VALU_DEP_1) | instskip(SKIP_1) | instid1(VALU_DEP_2)
	v_dual_fmac_f32 v22, v11, v20 :: v_dual_fmac_f32 v25, v26, v21
	v_add_nc_u32_e32 v26, 64, v0
	v_fma_f32 v23, -v10, v22, v23
	ds_load_2addr_stride64_b32 v[10:11], v12 offset0:16 offset1:32
	v_fma_f32 v12, -v19, v25, v24
	s_waitcnt lgkmcnt(0)
	s_barrier
	v_div_fmas_f32 v19, v23, v20, v22
	s_mov_b32 vcc_lo, s0
	v_max_u32_e32 v20, 64, v0
	v_div_fmas_f32 v12, v12, v21, v25
	v_cmp_gt_i32_e32 vcc_lo, s3, v26
	v_div_fixup_f32 v6, v19, v6, v13
	buffer_gl0_inv
	v_lshlrev_b32_e32 v19, 2, v20
	v_div_fixup_f32 v9, v12, v9, v14
	v_cndmask_b32_e32 v13, s1, v26, vcc_lo
	v_fma_f32 v12, -v6, v16, v15
	v_fma_f32 v7, -v6, v7, v17
	v_mul_f32_e64 v6, v6, -v18
	s_delay_alu instid0(VALU_DEP_4) | instskip(NEXT) | instid1(VALU_DEP_4)
	v_lshlrev_b32_e32 v13, 2, v13
	v_fma_f32 v11, -v9, v11, v12
	s_delay_alu instid0(VALU_DEP_4)
	v_fma_f32 v7, -v9, v8, v7
	v_mul_f32_e64 v8, v9, -v10
	ds_store_b32 v3, v11 offset:8192
	ds_store_b32 v3, v6
	ds_store_b32 v4, v7
	;; [unrolled: 1-line block ×3, first 2 shown]
	s_waitcnt lgkmcnt(0)
	s_barrier
	buffer_gl0_inv
	ds_load_2addr_stride64_b32 v[6:7], v19 offset0:7 offset1:15
	ds_load_b32 v12, v3
	ds_load_b32 v14, v5
	ds_load_2addr_stride64_b32 v[8:9], v13 offset1:8
	v_add_nc_u32_e32 v10, 0xffffff00, v19
	ds_load_b32 v15, v3 offset:8192
	ds_load_b32 v16, v19 offset:7936
	ds_load_b32 v17, v4
	ds_load_b32 v18, v10
	s_waitcnt lgkmcnt(6)
	v_div_scale_f32 v10, null, v6, v6, v12
	s_waitcnt lgkmcnt(4)
	v_div_scale_f32 v19, null, v9, v9, v14
	v_div_scale_f32 v23, vcc_lo, v12, v6, v12
	s_delay_alu instid0(VALU_DEP_3) | instskip(NEXT) | instid1(VALU_DEP_2)
	v_rcp_f32_e32 v20, v10
	v_rcp_f32_e32 v21, v19
	v_div_scale_f32 v24, s0, v14, v9, v14
	s_waitcnt_depctr 0xfff
	v_fma_f32 v11, -v10, v20, 1.0
	v_fma_f32 v22, -v19, v21, 1.0
	s_delay_alu instid0(VALU_DEP_1) | instskip(NEXT) | instid1(VALU_DEP_1)
	v_dual_fmac_f32 v20, v11, v20 :: v_dual_fmac_f32 v21, v22, v21
	v_dual_mul_f32 v22, v23, v20 :: v_dual_mul_f32 v25, v24, v21
	s_delay_alu instid0(VALU_DEP_1) | instskip(NEXT) | instid1(VALU_DEP_2)
	v_fma_f32 v11, -v10, v22, v23
	v_fma_f32 v26, -v19, v25, v24
	s_delay_alu instid0(VALU_DEP_1) | instskip(SKIP_1) | instid1(VALU_DEP_2)
	v_dual_fmac_f32 v22, v11, v20 :: v_dual_fmac_f32 v25, v26, v21
	v_add_nc_u32_e32 v26, 0x80, v0
	v_fma_f32 v23, -v10, v22, v23
	ds_load_2addr_stride64_b32 v[10:11], v13 offset0:16 offset1:32
	v_fma_f32 v13, -v19, v25, v24
	s_waitcnt lgkmcnt(0)
	s_barrier
	v_div_fmas_f32 v19, v23, v20, v22
	s_mov_b32 vcc_lo, s0
	v_max_u32_e32 v20, 0x80, v0
	v_div_fmas_f32 v13, v13, v21, v25
	v_cmp_gt_i32_e32 vcc_lo, s3, v26
	v_div_fixup_f32 v6, v19, v6, v12
	buffer_gl0_inv
	v_lshlrev_b32_e32 v19, 2, v20
	v_div_fixup_f32 v9, v13, v9, v14
	v_cndmask_b32_e32 v12, s1, v26, vcc_lo
	v_fma_f32 v13, -v6, v16, v15
	v_fma_f32 v7, -v6, v7, v17
	v_mul_f32_e64 v6, v6, -v18
	s_delay_alu instid0(VALU_DEP_4) | instskip(NEXT) | instid1(VALU_DEP_4)
	v_lshlrev_b32_e32 v12, 2, v12
	v_fma_f32 v11, -v9, v11, v13
	s_delay_alu instid0(VALU_DEP_4)
	v_fma_f32 v7, -v9, v8, v7
	v_mul_f32_e64 v8, v9, -v10
	ds_store_b32 v3, v11 offset:8192
	ds_store_b32 v3, v6
	ds_store_b32 v4, v7
	;; [unrolled: 1-line block ×3, first 2 shown]
	s_waitcnt lgkmcnt(0)
	s_barrier
	buffer_gl0_inv
	ds_load_2addr_stride64_b32 v[6:7], v19 offset0:6 offset1:14
	ds_load_b32 v13, v3
	ds_load_b32 v14, v5
	ds_load_2addr_stride64_b32 v[8:9], v12 offset1:8
	v_add_nc_u32_e32 v10, 0xfffffe00, v19
	ds_load_b32 v15, v3 offset:8192
	ds_load_b32 v16, v19 offset:7680
	ds_load_b32 v17, v4
	ds_load_b32 v18, v10
	s_waitcnt lgkmcnt(6)
	v_div_scale_f32 v19, null, v6, v6, v13
	s_waitcnt lgkmcnt(4)
	v_div_scale_f32 v20, null, v9, v9, v14
	v_div_scale_f32 v23, vcc_lo, v13, v6, v13
	s_delay_alu instid0(VALU_DEP_3) | instskip(NEXT) | instid1(VALU_DEP_2)
	v_rcp_f32_e32 v21, v19
	v_rcp_f32_e32 v22, v20
	v_div_scale_f32 v24, s0, v14, v9, v14
	s_waitcnt_depctr 0xfff
	v_fma_f32 v10, -v19, v21, 1.0
	v_fma_f32 v11, -v20, v22, 1.0
	s_delay_alu instid0(VALU_DEP_1) | instskip(NEXT) | instid1(VALU_DEP_1)
	v_dual_fmac_f32 v21, v10, v21 :: v_dual_fmac_f32 v22, v11, v22
	v_dual_mul_f32 v25, v23, v21 :: v_dual_mul_f32 v26, v24, v22
	s_delay_alu instid0(VALU_DEP_1) | instskip(NEXT) | instid1(VALU_DEP_2)
	v_fma_f32 v10, -v19, v25, v23
	v_fma_f32 v11, -v20, v26, v24
	s_delay_alu instid0(VALU_DEP_1)
	v_dual_fmac_f32 v25, v10, v21 :: v_dual_fmac_f32 v26, v11, v22
	ds_load_2addr_stride64_b32 v[10:11], v12 offset0:16 offset1:32
	s_waitcnt lgkmcnt(0)
	s_barrier
	v_fma_f32 v12, -v19, v25, v23
	v_fma_f32 v19, -v20, v26, v24
	buffer_gl0_inv
	v_div_fmas_f32 v12, v12, v21, v25
	s_mov_b32 vcc_lo, s0
	s_mov_b32 s0, exec_lo
	v_div_fmas_f32 v19, v19, v22, v26
	s_delay_alu instid0(VALU_DEP_2) | instskip(NEXT) | instid1(VALU_DEP_2)
	v_div_fixup_f32 v6, v12, v6, v13
	v_div_fixup_f32 v9, v19, v9, v14
	s_delay_alu instid0(VALU_DEP_2) | instskip(SKIP_2) | instid1(VALU_DEP_3)
	v_fma_f32 v12, -v6, v16, v15
	v_fma_f32 v7, -v6, v7, v17
	v_mul_f32_e64 v6, v6, -v18
	v_fma_f32 v11, -v9, v11, v12
	s_delay_alu instid0(VALU_DEP_3)
	v_fma_f32 v7, -v9, v8, v7
	v_mul_f32_e64 v8, v9, -v10
	ds_store_b32 v3, v11 offset:8192
	ds_store_b32 v3, v6
	ds_store_b32 v4, v7
	;; [unrolled: 1-line block ×3, first 2 shown]
	s_waitcnt lgkmcnt(0)
	s_barrier
	buffer_gl0_inv
	v_cmpx_gt_u32_e32 0x100, v0
	s_cbranch_execz .LBB16_14
; %bb.9:
	v_or_b32_e32 v6, 0x100, v0
	v_or_b32_e32 v7, 0x2000, v3
	s_mov_b32 s1, exec_lo
                                        ; implicit-def: $vgpr8
	s_delay_alu instid0(VALU_DEP_2)
	v_cmpx_le_i32_e64 s3, v6
	s_xor_b32 s1, exec_lo, s1
	s_cbranch_execz .LBB16_11
; %bb.10:
	ds_load_b32 v5, v7
	ds_load_b32 v4, v4
	s_waitcnt lgkmcnt(0)
	v_div_scale_f32 v6, null, v4, v4, v5
	s_delay_alu instid0(VALU_DEP_1) | instskip(SKIP_2) | instid1(VALU_DEP_1)
	v_rcp_f32_e32 v7, v6
	s_waitcnt_depctr 0xfff
	v_fma_f32 v8, -v6, v7, 1.0
	v_fmac_f32_e32 v7, v8, v7
	v_div_scale_f32 v8, vcc_lo, v5, v4, v5
	s_delay_alu instid0(VALU_DEP_1) | instskip(NEXT) | instid1(VALU_DEP_1)
	v_mul_f32_e32 v9, v8, v7
	v_fma_f32 v10, -v6, v9, v8
	s_delay_alu instid0(VALU_DEP_1) | instskip(NEXT) | instid1(VALU_DEP_1)
	v_fmac_f32_e32 v9, v10, v7
	v_fma_f32 v6, -v6, v9, v8
	s_delay_alu instid0(VALU_DEP_1) | instskip(NEXT) | instid1(VALU_DEP_1)
	v_div_fmas_f32 v6, v6, v7, v9
                                        ; implicit-def: $vgpr7
	v_div_fixup_f32 v8, v6, v4, v5
                                        ; implicit-def: $vgpr4
                                        ; implicit-def: $vgpr5
                                        ; implicit-def: $vgpr6
.LBB16_11:
	s_and_not1_saveexec_b32 s1, s1
	s_cbranch_execz .LBB16_13
; %bb.12:
	ds_load_b32 v0, v5
	ds_load_b32 v9, v3 offset:1024
	ds_load_2addr_stride64_b32 v[4:5], v4 offset1:4
	s_waitcnt lgkmcnt(1)
	v_mul_f32_e32 v8, v0, v9
	s_waitcnt lgkmcnt(0)
	s_delay_alu instid0(VALU_DEP_1) | instskip(NEXT) | instid1(VALU_DEP_1)
	v_fma_f32 v10, v5, v4, -v8
	v_div_scale_f32 v11, null, v10, v10, 1.0
	v_div_scale_f32 v13, vcc_lo, 1.0, v10, 1.0
	s_delay_alu instid0(VALU_DEP_2) | instskip(SKIP_2) | instid1(VALU_DEP_1)
	v_rcp_f32_e32 v12, v11
	s_waitcnt_depctr 0xfff
	v_fma_f32 v8, -v11, v12, 1.0
	v_fmac_f32_e32 v12, v8, v12
	ds_load_2addr_stride64_b32 v[7:8], v7 offset1:4
	v_mul_f32_e32 v14, v13, v12
	s_delay_alu instid0(VALU_DEP_1) | instskip(NEXT) | instid1(VALU_DEP_1)
	v_fma_f32 v15, -v11, v14, v13
	v_fmac_f32_e32 v14, v15, v12
	s_delay_alu instid0(VALU_DEP_1) | instskip(SKIP_2) | instid1(VALU_DEP_2)
	v_fma_f32 v11, -v11, v14, v13
	s_waitcnt lgkmcnt(0)
	v_dual_mul_f32 v9, v9, v7 :: v_dual_mul_f32 v0, v0, v8
	v_div_fmas_f32 v11, v11, v12, v14
	s_delay_alu instid0(VALU_DEP_2) | instskip(NEXT) | instid1(VALU_DEP_3)
	v_fma_f32 v4, v4, v8, -v9
	v_fma_f32 v0, v5, v7, -v0
	s_delay_alu instid0(VALU_DEP_3) | instskip(NEXT) | instid1(VALU_DEP_1)
	v_div_fixup_f32 v5, v11, v10, 1.0
	v_dual_mul_f32 v7, v5, v0 :: v_dual_mov_b32 v0, v6
	s_delay_alu instid0(VALU_DEP_4)
	v_mul_f32_e32 v8, v5, v4
	ds_store_b32 v3, v7 offset:6144
.LBB16_13:
	s_or_b32 exec_lo, exec_lo, s1
	v_lshlrev_b32_e32 v0, 2, v0
	ds_store_b32 v0, v8 offset:6144
.LBB16_14:
	s_or_b32 exec_lo, exec_lo, s0
	s_waitcnt lgkmcnt(0)
	s_barrier
	buffer_gl0_inv
	s_and_saveexec_b32 s0, s2
	s_cbranch_execz .LBB16_16
; %bb.15:
	ds_load_b32 v3, v3 offset:6144
	v_lshlrev_b64 v[0:1], 2, v[1:2]
	s_delay_alu instid0(VALU_DEP_1) | instskip(NEXT) | instid1(VALU_DEP_2)
	v_add_co_u32 v0, vcc_lo, s4, v0
	v_add_co_ci_u32_e32 v1, vcc_lo, s5, v1, vcc_lo
	s_waitcnt lgkmcnt(0)
	global_store_b32 v[0:1], v3, off
.LBB16_16:
	s_nop 0
	s_sendmsg sendmsg(MSG_DEALLOC_VGPRS)
	s_endpgm
	.section	.rodata,"a",@progbits
	.p2align	6, 0x0
	.amdhsa_kernel _ZN9rocsparseL44gtsv_nopivot_strided_batch_pcr_shared_kernelILj512EfEEviiiPKT0_S3_S3_PS1_
		.amdhsa_group_segment_fixed_size 10240
		.amdhsa_private_segment_fixed_size 0
		.amdhsa_kernarg_size 48
		.amdhsa_user_sgpr_count 15
		.amdhsa_user_sgpr_dispatch_ptr 0
		.amdhsa_user_sgpr_queue_ptr 0
		.amdhsa_user_sgpr_kernarg_segment_ptr 1
		.amdhsa_user_sgpr_dispatch_id 0
		.amdhsa_user_sgpr_private_segment_size 0
		.amdhsa_wavefront_size32 1
		.amdhsa_uses_dynamic_stack 0
		.amdhsa_enable_private_segment 0
		.amdhsa_system_sgpr_workgroup_id_x 1
		.amdhsa_system_sgpr_workgroup_id_y 0
		.amdhsa_system_sgpr_workgroup_id_z 0
		.amdhsa_system_sgpr_workgroup_info 0
		.amdhsa_system_vgpr_workitem_id 0
		.amdhsa_next_free_vgpr 28
		.amdhsa_next_free_sgpr 16
		.amdhsa_reserve_vcc 1
		.amdhsa_float_round_mode_32 0
		.amdhsa_float_round_mode_16_64 0
		.amdhsa_float_denorm_mode_32 3
		.amdhsa_float_denorm_mode_16_64 3
		.amdhsa_dx10_clamp 1
		.amdhsa_ieee_mode 1
		.amdhsa_fp16_overflow 0
		.amdhsa_workgroup_processor_mode 1
		.amdhsa_memory_ordered 1
		.amdhsa_forward_progress 0
		.amdhsa_shared_vgpr_count 0
		.amdhsa_exception_fp_ieee_invalid_op 0
		.amdhsa_exception_fp_denorm_src 0
		.amdhsa_exception_fp_ieee_div_zero 0
		.amdhsa_exception_fp_ieee_overflow 0
		.amdhsa_exception_fp_ieee_underflow 0
		.amdhsa_exception_fp_ieee_inexact 0
		.amdhsa_exception_int_div_zero 0
	.end_amdhsa_kernel
	.section	.text._ZN9rocsparseL44gtsv_nopivot_strided_batch_pcr_shared_kernelILj512EfEEviiiPKT0_S3_S3_PS1_,"axG",@progbits,_ZN9rocsparseL44gtsv_nopivot_strided_batch_pcr_shared_kernelILj512EfEEviiiPKT0_S3_S3_PS1_,comdat
.Lfunc_end16:
	.size	_ZN9rocsparseL44gtsv_nopivot_strided_batch_pcr_shared_kernelILj512EfEEviiiPKT0_S3_S3_PS1_, .Lfunc_end16-_ZN9rocsparseL44gtsv_nopivot_strided_batch_pcr_shared_kernelILj512EfEEviiiPKT0_S3_S3_PS1_
                                        ; -- End function
	.section	.AMDGPU.csdata,"",@progbits
; Kernel info:
; codeLenInByte = 4092
; NumSgprs: 18
; NumVgprs: 28
; ScratchSize: 0
; MemoryBound: 0
; FloatMode: 240
; IeeeMode: 1
; LDSByteSize: 10240 bytes/workgroup (compile time only)
; SGPRBlocks: 2
; VGPRBlocks: 3
; NumSGPRsForWavesPerEU: 18
; NumVGPRsForWavesPerEU: 28
; Occupancy: 16
; WaveLimiterHint : 0
; COMPUTE_PGM_RSRC2:SCRATCH_EN: 0
; COMPUTE_PGM_RSRC2:USER_SGPR: 15
; COMPUTE_PGM_RSRC2:TRAP_HANDLER: 0
; COMPUTE_PGM_RSRC2:TGID_X_EN: 1
; COMPUTE_PGM_RSRC2:TGID_Y_EN: 0
; COMPUTE_PGM_RSRC2:TGID_Z_EN: 0
; COMPUTE_PGM_RSRC2:TIDIG_COMP_CNT: 0
	.section	.text._ZN9rocsparseL49gtsv_nopivot_strided_batch_pcr_pow2_stage1_kernelILj256EfEEviiiiPKT0_S3_S3_S3_PS1_S4_S4_S4_,"axG",@progbits,_ZN9rocsparseL49gtsv_nopivot_strided_batch_pcr_pow2_stage1_kernelILj256EfEEviiiiPKT0_S3_S3_S3_PS1_S4_S4_S4_,comdat
	.globl	_ZN9rocsparseL49gtsv_nopivot_strided_batch_pcr_pow2_stage1_kernelILj256EfEEviiiiPKT0_S3_S3_S3_PS1_S4_S4_S4_ ; -- Begin function _ZN9rocsparseL49gtsv_nopivot_strided_batch_pcr_pow2_stage1_kernelILj256EfEEviiiiPKT0_S3_S3_S3_PS1_S4_S4_S4_
	.p2align	8
	.type	_ZN9rocsparseL49gtsv_nopivot_strided_batch_pcr_pow2_stage1_kernelILj256EfEEviiiiPKT0_S3_S3_S3_PS1_S4_S4_S4_,@function
_ZN9rocsparseL49gtsv_nopivot_strided_batch_pcr_pow2_stage1_kernelILj256EfEEviiiiPKT0_S3_S3_S3_PS1_S4_S4_S4_: ; @_ZN9rocsparseL49gtsv_nopivot_strided_batch_pcr_pow2_stage1_kernelILj256EfEEviiiiPKT0_S3_S3_S3_PS1_S4_S4_S4_
; %bb.0:
	s_clause 0x3
	s_load_b64 s[2:3], s[0:1], 0x0
	s_load_b32 s12, s[0:1], 0xc
	s_load_b256 s[4:11], s[0:1], 0x30
	s_load_b256 s[16:23], s[0:1], 0x10
	v_lshl_or_b32 v0, s14, 8, v0
	v_mov_b32_e32 v3, 0
	s_delay_alu instid0(VALU_DEP_2)
	v_ashrrev_i32_e32 v1, 31, v0
	s_waitcnt lgkmcnt(0)
	v_add_nc_u32_e32 v2, s2, v0
	s_mul_i32 s0, s15, s3
	s_add_i32 s13, s3, -1
	s_ashr_i32 s1, s0, 31
	v_subrev_nc_u32_e32 v5, s2, v0
	s_lshl_b64 s[0:1], s[0:1], 2
	s_mul_i32 s2, s15, s12
	s_add_u32 s10, s10, s0
	v_cmp_gt_i32_e32 vcc_lo, s3, v2
	s_addc_u32 s11, s11, s1
	s_ashr_i32 s3, s2, 31
	v_lshlrev_b64 v[0:1], 2, v[0:1]
	s_lshl_b64 s[2:3], s[2:3], 2
	v_cndmask_b32_e32 v4, s13, v2, vcc_lo
	s_add_u32 s12, s22, s2
	s_addc_u32 s13, s23, s3
	s_add_u32 s8, s8, s0
	s_addc_u32 s9, s9, s1
	;; [unrolled: 2-line block ×3, first 2 shown]
	s_add_u32 s6, s6, s0
	v_max_i32_e32 v2, 0, v5
	s_addc_u32 s7, s7, s1
	s_add_u32 s18, s18, s2
	s_addc_u32 s19, s19, s3
	s_add_u32 s4, s4, s0
	s_addc_u32 s5, s5, s1
	v_lshlrev_b64 v[2:3], 2, v[2:3]
	s_add_u32 s0, s16, s2
	v_ashrrev_i32_e32 v5, 31, v4
	s_addc_u32 s1, s17, s3
	v_add_co_u32 v6, vcc_lo, s0, v0
	v_add_co_ci_u32_e32 v7, vcc_lo, s1, v1, vcc_lo
	s_delay_alu instid0(VALU_DEP_3)
	v_lshlrev_b64 v[4:5], 2, v[4:5]
	v_add_co_u32 v8, vcc_lo, s18, v2
	v_add_co_ci_u32_e32 v9, vcc_lo, s19, v3, vcc_lo
	global_load_b32 v14, v[6:7], off
	v_add_co_u32 v6, vcc_lo, s14, v0
	v_add_co_ci_u32_e32 v7, vcc_lo, s15, v1, vcc_lo
	v_add_co_u32 v10, vcc_lo, s18, v4
	v_add_co_ci_u32_e32 v11, vcc_lo, s19, v5, vcc_lo
	global_load_b32 v15, v[8:9], off
	global_load_b32 v16, v[6:7], off
	;; [unrolled: 1-line block ×3, first 2 shown]
	v_add_co_u32 v6, vcc_lo, s12, v0
	v_add_co_ci_u32_e32 v7, vcc_lo, s13, v1, vcc_lo
	v_add_co_u32 v8, vcc_lo, s12, v2
	v_add_co_ci_u32_e32 v9, vcc_lo, s13, v3, vcc_lo
	;; [unrolled: 2-line block ×3, first 2 shown]
	global_load_b32 v18, v[6:7], off
	v_add_co_u32 v6, vcc_lo, s12, v4
	v_add_co_ci_u32_e32 v7, vcc_lo, s13, v5, vcc_lo
	v_add_co_u32 v12, vcc_lo, s18, v0
	v_add_co_ci_u32_e32 v13, vcc_lo, s19, v1, vcc_lo
	global_load_b32 v10, v[10:11], off
	global_load_b32 v11, v[8:9], off
	v_add_co_u32 v8, vcc_lo, s0, v4
	v_add_co_ci_u32_e32 v9, vcc_lo, s1, v5, vcc_lo
	v_add_co_u32 v2, vcc_lo, s0, v2
	global_load_b32 v12, v[12:13], off
	v_add_co_ci_u32_e32 v3, vcc_lo, s1, v3, vcc_lo
	v_add_co_u32 v4, vcc_lo, s14, v4
	v_add_co_ci_u32_e32 v5, vcc_lo, s15, v5, vcc_lo
	s_clause 0x1
	global_load_b32 v13, v[2:3], off
	global_load_b32 v8, v[8:9], off
	;; [unrolled: 1-line block ×4, first 2 shown]
	s_waitcnt vmcnt(10)
	v_div_scale_f32 v2, null, v15, v15, v14
	s_waitcnt vmcnt(8)
	v_div_scale_f32 v4, null, v17, v17, v16
	v_div_scale_f32 v7, vcc_lo, v14, v15, v14
	s_delay_alu instid0(VALU_DEP_3) | instskip(NEXT) | instid1(VALU_DEP_2)
	v_rcp_f32_e32 v5, v2
	v_rcp_f32_e32 v6, v4
	v_div_scale_f32 v21, s0, v16, v17, v16
	s_waitcnt_depctr 0xfff
	v_fma_f32 v3, -v2, v5, 1.0
	v_fma_f32 v20, -v4, v6, 1.0
	s_delay_alu instid0(VALU_DEP_1) | instskip(NEXT) | instid1(VALU_DEP_1)
	v_dual_fmac_f32 v5, v3, v5 :: v_dual_fmac_f32 v6, v20, v6
	v_mul_f32_e32 v20, v7, v5
	s_delay_alu instid0(VALU_DEP_2) | instskip(NEXT) | instid1(VALU_DEP_2)
	v_mul_f32_e32 v22, v21, v6
	v_fma_f32 v3, -v2, v20, v7
	s_delay_alu instid0(VALU_DEP_2) | instskip(NEXT) | instid1(VALU_DEP_2)
	v_fma_f32 v23, -v4, v22, v21
	v_fmac_f32_e32 v20, v3, v5
	s_delay_alu instid0(VALU_DEP_2) | instskip(NEXT) | instid1(VALU_DEP_2)
	v_fmac_f32_e32 v22, v23, v6
	v_fma_f32 v7, -v2, v20, v7
	s_delay_alu instid0(VALU_DEP_2) | instskip(SKIP_1) | instid1(VALU_DEP_1)
	v_fma_f32 v21, -v4, v22, v21
	v_add_co_u32 v2, s1, s10, v0
	v_add_co_ci_u32_e64 v3, s1, s11, v1, s1
	s_delay_alu instid0(VALU_DEP_4) | instskip(SKIP_3) | instid1(VALU_DEP_3)
	v_div_fmas_f32 v7, v7, v5, v20
	v_add_co_u32 v4, vcc_lo, s8, v0
	v_add_co_ci_u32_e32 v5, vcc_lo, s9, v1, vcc_lo
	s_mov_b32 vcc_lo, s0
	v_div_fixup_f32 v14, v7, v15, v14
	v_div_fmas_f32 v20, v21, v6, v22
	v_add_co_u32 v6, vcc_lo, s6, v0
	v_add_co_ci_u32_e32 v7, vcc_lo, s7, v1, vcc_lo
	s_delay_alu instid0(VALU_DEP_3)
	v_div_fixup_f32 v15, v20, v17, v16
	s_waitcnt vmcnt(4)
	v_fma_f32 v10, -v14, v10, v12
	v_fma_f32 v11, -v14, v11, v18
	v_add_co_u32 v0, vcc_lo, s4, v0
	v_add_co_ci_u32_e32 v1, vcc_lo, s5, v1, vcc_lo
	s_waitcnt vmcnt(3)
	v_mul_f32_e64 v12, v14, -v13
	s_waitcnt vmcnt(2)
	v_fma_f32 v8, -v15, v8, v10
	s_waitcnt vmcnt(1)
	v_fma_f32 v9, -v9, v15, v11
	s_waitcnt vmcnt(0)
	v_mul_f32_e64 v10, v15, -v19
	global_store_b32 v[0:1], v12, off
	global_store_b32 v[6:7], v8, off
	;; [unrolled: 1-line block ×4, first 2 shown]
	s_nop 0
	s_sendmsg sendmsg(MSG_DEALLOC_VGPRS)
	s_endpgm
	.section	.rodata,"a",@progbits
	.p2align	6, 0x0
	.amdhsa_kernel _ZN9rocsparseL49gtsv_nopivot_strided_batch_pcr_pow2_stage1_kernelILj256EfEEviiiiPKT0_S3_S3_S3_PS1_S4_S4_S4_
		.amdhsa_group_segment_fixed_size 0
		.amdhsa_private_segment_fixed_size 0
		.amdhsa_kernarg_size 80
		.amdhsa_user_sgpr_count 14
		.amdhsa_user_sgpr_dispatch_ptr 0
		.amdhsa_user_sgpr_queue_ptr 0
		.amdhsa_user_sgpr_kernarg_segment_ptr 1
		.amdhsa_user_sgpr_dispatch_id 0
		.amdhsa_user_sgpr_private_segment_size 0
		.amdhsa_wavefront_size32 1
		.amdhsa_uses_dynamic_stack 0
		.amdhsa_enable_private_segment 0
		.amdhsa_system_sgpr_workgroup_id_x 1
		.amdhsa_system_sgpr_workgroup_id_y 1
		.amdhsa_system_sgpr_workgroup_id_z 0
		.amdhsa_system_sgpr_workgroup_info 0
		.amdhsa_system_vgpr_workitem_id 0
		.amdhsa_next_free_vgpr 24
		.amdhsa_next_free_sgpr 24
		.amdhsa_reserve_vcc 1
		.amdhsa_float_round_mode_32 0
		.amdhsa_float_round_mode_16_64 0
		.amdhsa_float_denorm_mode_32 3
		.amdhsa_float_denorm_mode_16_64 3
		.amdhsa_dx10_clamp 1
		.amdhsa_ieee_mode 1
		.amdhsa_fp16_overflow 0
		.amdhsa_workgroup_processor_mode 1
		.amdhsa_memory_ordered 1
		.amdhsa_forward_progress 0
		.amdhsa_shared_vgpr_count 0
		.amdhsa_exception_fp_ieee_invalid_op 0
		.amdhsa_exception_fp_denorm_src 0
		.amdhsa_exception_fp_ieee_div_zero 0
		.amdhsa_exception_fp_ieee_overflow 0
		.amdhsa_exception_fp_ieee_underflow 0
		.amdhsa_exception_fp_ieee_inexact 0
		.amdhsa_exception_int_div_zero 0
	.end_amdhsa_kernel
	.section	.text._ZN9rocsparseL49gtsv_nopivot_strided_batch_pcr_pow2_stage1_kernelILj256EfEEviiiiPKT0_S3_S3_S3_PS1_S4_S4_S4_,"axG",@progbits,_ZN9rocsparseL49gtsv_nopivot_strided_batch_pcr_pow2_stage1_kernelILj256EfEEviiiiPKT0_S3_S3_S3_PS1_S4_S4_S4_,comdat
.Lfunc_end17:
	.size	_ZN9rocsparseL49gtsv_nopivot_strided_batch_pcr_pow2_stage1_kernelILj256EfEEviiiiPKT0_S3_S3_S3_PS1_S4_S4_S4_, .Lfunc_end17-_ZN9rocsparseL49gtsv_nopivot_strided_batch_pcr_pow2_stage1_kernelILj256EfEEviiiiPKT0_S3_S3_S3_PS1_S4_S4_S4_
                                        ; -- End function
	.section	.AMDGPU.csdata,"",@progbits
; Kernel info:
; codeLenInByte = 804
; NumSgprs: 26
; NumVgprs: 24
; ScratchSize: 0
; MemoryBound: 0
; FloatMode: 240
; IeeeMode: 1
; LDSByteSize: 0 bytes/workgroup (compile time only)
; SGPRBlocks: 3
; VGPRBlocks: 2
; NumSGPRsForWavesPerEU: 26
; NumVGPRsForWavesPerEU: 24
; Occupancy: 16
; WaveLimiterHint : 0
; COMPUTE_PGM_RSRC2:SCRATCH_EN: 0
; COMPUTE_PGM_RSRC2:USER_SGPR: 14
; COMPUTE_PGM_RSRC2:TRAP_HANDLER: 0
; COMPUTE_PGM_RSRC2:TGID_X_EN: 1
; COMPUTE_PGM_RSRC2:TGID_Y_EN: 1
; COMPUTE_PGM_RSRC2:TGID_Z_EN: 0
; COMPUTE_PGM_RSRC2:TIDIG_COMP_CNT: 0
	.section	.text._ZN9rocsparseL48gtsv_nopivot_strided_batch_cr_pow2_stage2_kernelILj256EfEEviiiPKT0_S3_S3_S3_PS1_,"axG",@progbits,_ZN9rocsparseL48gtsv_nopivot_strided_batch_cr_pow2_stage2_kernelILj256EfEEviiiPKT0_S3_S3_S3_PS1_,comdat
	.globl	_ZN9rocsparseL48gtsv_nopivot_strided_batch_cr_pow2_stage2_kernelILj256EfEEviiiPKT0_S3_S3_S3_PS1_ ; -- Begin function _ZN9rocsparseL48gtsv_nopivot_strided_batch_cr_pow2_stage2_kernelILj256EfEEviiiPKT0_S3_S3_S3_PS1_
	.p2align	8
	.type	_ZN9rocsparseL48gtsv_nopivot_strided_batch_cr_pow2_stage2_kernelILj256EfEEviiiPKT0_S3_S3_S3_PS1_,@function
_ZN9rocsparseL48gtsv_nopivot_strided_batch_cr_pow2_stage2_kernelILj256EfEEviiiPKT0_S3_S3_S3_PS1_: ; @_ZN9rocsparseL48gtsv_nopivot_strided_batch_cr_pow2_stage2_kernelILj256EfEEviiiPKT0_S3_S3_S3_PS1_
; %bb.0:
	s_clause 0x2
	s_load_b32 s2, s[0:1], 0x38
	s_load_b32 s3, s[0:1], 0x0
	s_load_b256 s[4:11], s[0:1], 0x10
	s_waitcnt lgkmcnt(0)
	v_mad_u64_u32 v[1:2], null, s2, v0, s[14:15]
	s_mul_i32 s3, s15, s3
	s_delay_alu instid0(VALU_DEP_1) | instid1(SALU_CYCLE_1)
	v_dual_mov_b32 v5, 0 :: v_dual_add_nc_u32 v4, s3, v1
	v_lshl_add_u32 v2, s2, 8, v1
	v_cmp_gt_u32_e64 s2, 0x100, v0
	s_delay_alu instid0(VALU_DEP_3) | instskip(NEXT) | instid1(VALU_DEP_3)
	v_lshlrev_b64 v[6:7], 2, v[4:5]
	v_add_nc_u32_e32 v4, s3, v2
	s_delay_alu instid0(VALU_DEP_1) | instskip(NEXT) | instid1(VALU_DEP_3)
	v_lshlrev_b64 v[3:4], 2, v[4:5]
	v_add_co_u32 v8, vcc_lo, s4, v6
	s_delay_alu instid0(VALU_DEP_4)
	v_add_co_ci_u32_e32 v9, vcc_lo, s5, v7, vcc_lo
	v_add_co_u32 v10, vcc_lo, s6, v6
	v_add_co_ci_u32_e32 v11, vcc_lo, s7, v7, vcc_lo
	v_add_co_u32 v12, vcc_lo, s8, v6
	;; [unrolled: 2-line block ×3, first 2 shown]
	v_add_co_ci_u32_e32 v7, vcc_lo, s11, v7, vcc_lo
	global_load_b32 v14, v[8:9], off
	global_load_b32 v15, v[10:11], off
	;; [unrolled: 1-line block ×3, first 2 shown]
	v_add_co_u32 v8, vcc_lo, s4, v3
	v_add_co_ci_u32_e32 v9, vcc_lo, s5, v4, vcc_lo
	v_add_co_u32 v10, vcc_lo, s6, v3
	v_add_co_ci_u32_e32 v11, vcc_lo, s7, v4, vcc_lo
	;; [unrolled: 2-line block ×4, first 2 shown]
	global_load_b32 v6, v[6:7], off
	global_load_b32 v7, v[8:9], off
	;; [unrolled: 1-line block ×5, first 2 shown]
	v_lshlrev_b32_e32 v3, 2, v0
	v_add_nc_u32_e32 v4, 1, v0
	ds_store_2addr_stride64_b32 v3, v5, v5 offset0:24 offset1:28
	s_waitcnt vmcnt(3)
	ds_store_2addr_stride64_b32 v3, v14, v7 offset1:4
	s_waitcnt vmcnt(2)
	ds_store_2addr_stride64_b32 v3, v15, v8 offset0:8 offset1:12
	s_waitcnt vmcnt(1)
	ds_store_2addr_stride64_b32 v3, v16, v9 offset0:16 offset1:20
	;; [unrolled: 2-line block ×3, first 2 shown]
	s_waitcnt lgkmcnt(0)
	s_barrier
	buffer_gl0_inv
	s_and_saveexec_b32 s4, s2
	s_cbranch_execz .LBB18_2
; %bb.1:
	v_lshlrev_b32_e32 v5, 1, v4
	v_lshlrev_b32_e32 v17, 3, v4
	s_delay_alu instid0(VALU_DEP_2) | instskip(NEXT) | instid1(VALU_DEP_2)
	v_min_u32_e32 v5, 0x1ff, v5
	v_add_nc_u32_e32 v6, 0x1f8, v17
	v_add_nc_u32_e32 v9, -8, v17
	s_delay_alu instid0(VALU_DEP_3)
	v_lshlrev_b32_e32 v15, 2, v5
	ds_load_2addr_stride64_b64 v[5:8], v6 offset0:3 offset1:7
	ds_load_b64 v[9:10], v9
	ds_load_2addr_stride64_b32 v[11:12], v15 offset1:8
	ds_load_b64 v[13:14], v17 offset:8184
	s_waitcnt lgkmcnt(2)
	v_div_scale_f32 v18, null, v5, v5, v10
	s_waitcnt lgkmcnt(1)
	v_div_scale_f32 v19, null, v12, v12, v8
	v_div_scale_f32 v23, vcc_lo, v10, v5, v10
	s_delay_alu instid0(VALU_DEP_3) | instskip(NEXT) | instid1(VALU_DEP_2)
	v_rcp_f32_e32 v20, v18
	v_rcp_f32_e32 v21, v19
	v_div_scale_f32 v24, s3, v8, v12, v8
	s_waitcnt_depctr 0xfff
	v_fma_f32 v16, -v18, v20, 1.0
	v_fma_f32 v22, -v19, v21, 1.0
	s_delay_alu instid0(VALU_DEP_1) | instskip(NEXT) | instid1(VALU_DEP_1)
	v_dual_fmac_f32 v20, v16, v20 :: v_dual_fmac_f32 v21, v22, v21
	v_mul_f32_e32 v22, v23, v20
	s_delay_alu instid0(VALU_DEP_1) | instskip(NEXT) | instid1(VALU_DEP_1)
	v_fma_f32 v16, -v18, v22, v23
	v_fmac_f32_e32 v22, v16, v20
	s_delay_alu instid0(VALU_DEP_4) | instskip(SKIP_3) | instid1(VALU_DEP_2)
	v_mul_f32_e32 v25, v24, v21
	ds_load_2addr_stride64_b32 v[15:16], v15 offset0:16 offset1:32
	v_fma_f32 v18, -v18, v22, v23
	v_fma_f32 v26, -v19, v25, v24
	v_div_fmas_f32 v18, v18, v20, v22
	s_delay_alu instid0(VALU_DEP_2) | instskip(SKIP_1) | instid1(VALU_DEP_2)
	v_fmac_f32_e32 v25, v26, v21
	s_mov_b32 vcc_lo, s3
	v_div_fixup_f32 v5, v18, v5, v10
	s_delay_alu instid0(VALU_DEP_2) | instskip(SKIP_1) | instid1(VALU_DEP_2)
	v_fma_f32 v19, -v19, v25, v24
	s_waitcnt lgkmcnt(1)
	v_fma_f32 v10, -v5, v13, v14
	s_delay_alu instid0(VALU_DEP_2) | instskip(SKIP_3) | instid1(VALU_DEP_4)
	v_div_fmas_f32 v19, v19, v21, v25
	v_fma_f32 v6, -v5, v7, v6
	v_mul_f32_e64 v5, v5, -v9
	v_add_nc_u32_e32 v7, -4, v17
	v_div_fixup_f32 v8, v19, v12, v8
	v_add_nc_u32_e32 v12, 0xfc, v17
	s_waitcnt lgkmcnt(0)
	s_delay_alu instid0(VALU_DEP_2)
	v_fma_f32 v9, -v8, v16, v10
	v_fma_f32 v6, -v8, v11, v6
	v_mul_f32_e64 v8, v8, -v15
	ds_store_b32 v17, v9 offset:8188
	ds_store_b32 v7, v5
	ds_store_2addr_stride64_b32 v12, v6, v8 offset0:7 offset1:15
.LBB18_2:
	s_or_b32 exec_lo, exec_lo, s4
	v_cmp_gt_u32_e64 s3, 0x80, v0
	s_waitcnt lgkmcnt(0)
	s_barrier
	buffer_gl0_inv
	s_and_saveexec_b32 s5, s3
	s_cbranch_execz .LBB18_4
; %bb.3:
	v_lshl_or_b32 v5, v4, 2, 1
	v_lshlrev_b32_e32 v15, 4, v4
	s_delay_alu instid0(VALU_DEP_2) | instskip(NEXT) | instid1(VALU_DEP_2)
	v_min_u32_e32 v5, 0x1ff, v5
	v_add_nc_u32_e32 v6, 0x400, v15
	v_add_nc_u32_e32 v16, -4, v15
	v_add_nc_u32_e32 v7, 0xc00, v15
	s_delay_alu instid0(VALU_DEP_4)
	v_lshlrev_b32_e32 v13, 2, v5
	ds_load_2addr_b32 v[5:6], v6 offset0:253 offset1:255
	ds_load_b32 v17, v16
	ds_load_2addr_b32 v[7:8], v7 offset0:253 offset1:255
	ds_load_2addr_stride64_b32 v[9:10], v13 offset1:8
	s_waitcnt lgkmcnt(2)
	v_div_scale_f32 v19, null, v5, v5, v17
	s_waitcnt lgkmcnt(0)
	v_div_scale_f32 v20, null, v10, v10, v8
	v_div_scale_f32 v23, vcc_lo, v17, v5, v17
	s_delay_alu instid0(VALU_DEP_3) | instskip(NEXT) | instid1(VALU_DEP_2)
	v_rcp_f32_e32 v21, v19
	v_rcp_f32_e32 v22, v20
	v_div_scale_f32 v24, s4, v8, v10, v8
	s_waitcnt_depctr 0xfff
	v_fma_f32 v12, -v20, v22, 1.0
	s_delay_alu instid0(VALU_DEP_1) | instskip(NEXT) | instid1(VALU_DEP_1)
	v_dual_fmac_f32 v22, v12, v22 :: v_dual_add_nc_u32 v11, -12, v15
	v_mul_f32_e32 v26, v24, v22
	ds_load_b32 v18, v11
	v_fma_f32 v11, -v19, v21, 1.0
	v_fma_f32 v27, -v20, v26, v24
	s_delay_alu instid0(VALU_DEP_2) | instskip(NEXT) | instid1(VALU_DEP_2)
	v_fmac_f32_e32 v21, v11, v21
	v_dual_fmac_f32 v26, v27, v22 :: v_dual_add_nc_u32 v11, 0x1c00, v15
	s_delay_alu instid0(VALU_DEP_2) | instskip(SKIP_3) | instid1(VALU_DEP_1)
	v_mul_f32_e32 v25, v23, v21
	ds_load_2addr_b32 v[11:12], v11 offset0:253 offset1:255
	v_fma_f32 v20, -v20, v26, v24
	v_fma_f32 v14, -v19, v25, v23
	v_fmac_f32_e32 v25, v14, v21
	ds_load_2addr_stride64_b32 v[13:14], v13 offset0:16 offset1:32
	v_fma_f32 v19, -v19, v25, v23
	s_delay_alu instid0(VALU_DEP_1) | instskip(SKIP_2) | instid1(VALU_DEP_2)
	v_div_fmas_f32 v19, v19, v21, v25
	s_mov_b32 vcc_lo, s4
	v_div_fmas_f32 v20, v20, v22, v26
	v_div_fixup_f32 v5, v19, v5, v17
	s_delay_alu instid0(VALU_DEP_2) | instskip(SKIP_1) | instid1(VALU_DEP_2)
	v_div_fixup_f32 v8, v20, v10, v8
	s_waitcnt lgkmcnt(1)
	v_fma_f32 v10, -v5, v11, v12
	v_fma_f32 v6, -v5, v7, v6
	v_mul_f32_e64 v5, v5, -v18
	v_add_nc_u32_e32 v7, 0xfc, v15
	s_waitcnt lgkmcnt(0)
	v_fma_f32 v10, -v8, v14, v10
	v_fma_f32 v6, -v8, v9, v6
	v_mul_f32_e64 v8, v8, -v13
	ds_store_b32 v15, v10 offset:8188
	ds_store_b32 v16, v5
	ds_store_2addr_stride64_b32 v7, v6, v8 offset0:7 offset1:15
.LBB18_4:
	s_or_b32 exec_lo, exec_lo, s5
	v_cmp_gt_u32_e64 s4, 64, v0
	s_waitcnt lgkmcnt(0)
	s_barrier
	buffer_gl0_inv
	s_and_saveexec_b32 s6, s4
	s_cbranch_execz .LBB18_6
; %bb.5:
	v_lshl_or_b32 v5, v4, 3, 3
	v_lshlrev_b32_e32 v15, 5, v4
	s_delay_alu instid0(VALU_DEP_2) | instskip(NEXT) | instid1(VALU_DEP_2)
	v_min_u32_e32 v5, 0x1ff, v5
	v_add_nc_u32_e32 v6, 0x400, v15
	v_add_nc_u32_e32 v16, -4, v15
	v_add_nc_u32_e32 v7, 0xc00, v15
	s_delay_alu instid0(VALU_DEP_4)
	v_lshlrev_b32_e32 v13, 2, v5
	ds_load_2addr_b32 v[5:6], v6 offset0:251 offset1:255
	ds_load_b32 v17, v16
	ds_load_2addr_b32 v[7:8], v7 offset0:251 offset1:255
	ds_load_2addr_stride64_b32 v[9:10], v13 offset1:8
	s_waitcnt lgkmcnt(2)
	v_div_scale_f32 v19, null, v5, v5, v17
	s_waitcnt lgkmcnt(0)
	v_div_scale_f32 v20, null, v10, v10, v8
	v_div_scale_f32 v23, vcc_lo, v17, v5, v17
	s_delay_alu instid0(VALU_DEP_3) | instskip(NEXT) | instid1(VALU_DEP_2)
	v_rcp_f32_e32 v21, v19
	v_rcp_f32_e32 v22, v20
	v_div_scale_f32 v24, s5, v8, v10, v8
	s_waitcnt_depctr 0xfff
	v_fma_f32 v12, -v20, v22, 1.0
	s_delay_alu instid0(VALU_DEP_1) | instskip(SKIP_1) | instid1(VALU_DEP_2)
	v_fmac_f32_e32 v22, v12, v22
	v_subrev_nc_u32_e32 v11, 20, v15
	v_mul_f32_e32 v26, v24, v22
	ds_load_b32 v18, v11
	v_fma_f32 v11, -v19, v21, 1.0
	v_fma_f32 v27, -v20, v26, v24
	s_delay_alu instid0(VALU_DEP_2) | instskip(NEXT) | instid1(VALU_DEP_2)
	v_fmac_f32_e32 v21, v11, v21
	v_dual_fmac_f32 v26, v27, v22 :: v_dual_add_nc_u32 v11, 0x1c00, v15
	s_delay_alu instid0(VALU_DEP_2) | instskip(SKIP_3) | instid1(VALU_DEP_1)
	v_mul_f32_e32 v25, v23, v21
	ds_load_2addr_b32 v[11:12], v11 offset0:251 offset1:255
	v_fma_f32 v20, -v20, v26, v24
	v_fma_f32 v14, -v19, v25, v23
	v_fmac_f32_e32 v25, v14, v21
	ds_load_2addr_stride64_b32 v[13:14], v13 offset0:16 offset1:32
	v_fma_f32 v19, -v19, v25, v23
	s_delay_alu instid0(VALU_DEP_1) | instskip(SKIP_2) | instid1(VALU_DEP_2)
	v_div_fmas_f32 v19, v19, v21, v25
	s_mov_b32 vcc_lo, s5
	v_div_fmas_f32 v20, v20, v22, v26
	v_div_fixup_f32 v5, v19, v5, v17
	s_delay_alu instid0(VALU_DEP_2) | instskip(SKIP_1) | instid1(VALU_DEP_2)
	v_div_fixup_f32 v8, v20, v10, v8
	s_waitcnt lgkmcnt(1)
	v_fma_f32 v10, -v5, v11, v12
	v_fma_f32 v6, -v5, v7, v6
	v_mul_f32_e64 v5, v5, -v18
	v_add_nc_u32_e32 v7, 0xfc, v15
	s_waitcnt lgkmcnt(0)
	v_fma_f32 v10, -v8, v14, v10
	v_fma_f32 v6, -v8, v9, v6
	v_mul_f32_e64 v8, v8, -v13
	ds_store_b32 v15, v10 offset:8188
	ds_store_b32 v16, v5
	ds_store_2addr_stride64_b32 v7, v6, v8 offset0:7 offset1:15
.LBB18_6:
	s_or_b32 exec_lo, exec_lo, s6
	v_cmp_gt_u32_e64 s5, 32, v0
	s_waitcnt lgkmcnt(0)
	s_barrier
	buffer_gl0_inv
	s_and_saveexec_b32 s7, s5
	s_cbranch_execz .LBB18_8
; %bb.7:
	v_lshl_or_b32 v5, v4, 4, 7
	v_lshlrev_b32_e32 v15, 6, v4
	s_delay_alu instid0(VALU_DEP_2) | instskip(NEXT) | instid1(VALU_DEP_2)
	v_min_u32_e32 v5, 0x1ff, v5
	v_add_nc_u32_e32 v6, 0x400, v15
	v_add_nc_u32_e32 v16, -4, v15
	v_add_nc_u32_e32 v7, 0xc00, v15
	s_delay_alu instid0(VALU_DEP_4)
	v_lshlrev_b32_e32 v13, 2, v5
	ds_load_2addr_b32 v[5:6], v6 offset0:247 offset1:255
	ds_load_b32 v17, v16
	ds_load_2addr_b32 v[7:8], v7 offset0:247 offset1:255
	ds_load_2addr_stride64_b32 v[9:10], v13 offset1:8
	s_waitcnt lgkmcnt(2)
	v_div_scale_f32 v19, null, v5, v5, v17
	s_waitcnt lgkmcnt(0)
	v_div_scale_f32 v20, null, v10, v10, v8
	v_div_scale_f32 v23, vcc_lo, v17, v5, v17
	s_delay_alu instid0(VALU_DEP_3) | instskip(NEXT) | instid1(VALU_DEP_2)
	v_rcp_f32_e32 v21, v19
	v_rcp_f32_e32 v22, v20
	v_div_scale_f32 v24, s6, v8, v10, v8
	s_waitcnt_depctr 0xfff
	v_fma_f32 v12, -v20, v22, 1.0
	s_delay_alu instid0(VALU_DEP_1) | instskip(SKIP_1) | instid1(VALU_DEP_2)
	v_fmac_f32_e32 v22, v12, v22
	v_subrev_nc_u32_e32 v11, 36, v15
	v_mul_f32_e32 v26, v24, v22
	ds_load_b32 v18, v11
	v_fma_f32 v11, -v19, v21, 1.0
	v_fma_f32 v27, -v20, v26, v24
	s_delay_alu instid0(VALU_DEP_2) | instskip(NEXT) | instid1(VALU_DEP_2)
	v_fmac_f32_e32 v21, v11, v21
	v_dual_fmac_f32 v26, v27, v22 :: v_dual_add_nc_u32 v11, 0x1c00, v15
	s_delay_alu instid0(VALU_DEP_2) | instskip(SKIP_3) | instid1(VALU_DEP_1)
	v_mul_f32_e32 v25, v23, v21
	ds_load_2addr_b32 v[11:12], v11 offset0:247 offset1:255
	v_fma_f32 v20, -v20, v26, v24
	v_fma_f32 v14, -v19, v25, v23
	v_fmac_f32_e32 v25, v14, v21
	ds_load_2addr_stride64_b32 v[13:14], v13 offset0:16 offset1:32
	v_fma_f32 v19, -v19, v25, v23
	s_delay_alu instid0(VALU_DEP_1) | instskip(SKIP_2) | instid1(VALU_DEP_2)
	v_div_fmas_f32 v19, v19, v21, v25
	s_mov_b32 vcc_lo, s6
	v_div_fmas_f32 v20, v20, v22, v26
	v_div_fixup_f32 v5, v19, v5, v17
	s_delay_alu instid0(VALU_DEP_2) | instskip(SKIP_1) | instid1(VALU_DEP_2)
	v_div_fixup_f32 v8, v20, v10, v8
	s_waitcnt lgkmcnt(1)
	v_fma_f32 v10, -v5, v11, v12
	v_fma_f32 v6, -v5, v7, v6
	v_mul_f32_e64 v5, v5, -v18
	v_add_nc_u32_e32 v7, 0xfc, v15
	s_waitcnt lgkmcnt(0)
	v_fma_f32 v10, -v8, v14, v10
	v_fma_f32 v6, -v8, v9, v6
	v_mul_f32_e64 v8, v8, -v13
	ds_store_b32 v15, v10 offset:8188
	ds_store_b32 v16, v5
	ds_store_2addr_stride64_b32 v7, v6, v8 offset0:7 offset1:15
.LBB18_8:
	s_or_b32 exec_lo, exec_lo, s7
	v_cmp_gt_u32_e64 s6, 16, v0
	s_waitcnt lgkmcnt(0)
	s_barrier
	buffer_gl0_inv
	s_and_saveexec_b32 s8, s6
	s_cbranch_execz .LBB18_10
; %bb.9:
	v_lshl_or_b32 v5, v4, 5, 15
	v_lshlrev_b32_e32 v15, 7, v4
	s_delay_alu instid0(VALU_DEP_2) | instskip(NEXT) | instid1(VALU_DEP_2)
	v_min_u32_e32 v5, 0x1ff, v5
	v_add_nc_u32_e32 v6, 0x400, v15
	v_add_nc_u32_e32 v16, -4, v15
	v_add_nc_u32_e32 v7, 0xc00, v15
	s_delay_alu instid0(VALU_DEP_4)
	v_lshlrev_b32_e32 v13, 2, v5
	ds_load_2addr_b32 v[5:6], v6 offset0:239 offset1:255
	ds_load_b32 v17, v16
	ds_load_2addr_b32 v[7:8], v7 offset0:239 offset1:255
	ds_load_2addr_stride64_b32 v[9:10], v13 offset1:8
	s_waitcnt lgkmcnt(2)
	v_div_scale_f32 v19, null, v5, v5, v17
	s_waitcnt lgkmcnt(0)
	v_div_scale_f32 v20, null, v10, v10, v8
	v_div_scale_f32 v23, vcc_lo, v17, v5, v17
	s_delay_alu instid0(VALU_DEP_3) | instskip(NEXT) | instid1(VALU_DEP_2)
	v_rcp_f32_e32 v21, v19
	v_rcp_f32_e32 v22, v20
	v_div_scale_f32 v24, s7, v8, v10, v8
	s_waitcnt_depctr 0xfff
	v_fma_f32 v12, -v20, v22, 1.0
	s_delay_alu instid0(VALU_DEP_1) | instskip(NEXT) | instid1(VALU_DEP_1)
	v_dual_fmac_f32 v22, v12, v22 :: v_dual_add_nc_u32 v11, 0xffffffbc, v15
	v_mul_f32_e32 v26, v24, v22
	ds_load_b32 v18, v11
	v_fma_f32 v11, -v19, v21, 1.0
	v_fma_f32 v27, -v20, v26, v24
	s_delay_alu instid0(VALU_DEP_2) | instskip(NEXT) | instid1(VALU_DEP_2)
	v_fmac_f32_e32 v21, v11, v21
	v_dual_fmac_f32 v26, v27, v22 :: v_dual_add_nc_u32 v11, 0x1c00, v15
	s_delay_alu instid0(VALU_DEP_2) | instskip(SKIP_3) | instid1(VALU_DEP_1)
	v_mul_f32_e32 v25, v23, v21
	ds_load_2addr_b32 v[11:12], v11 offset0:239 offset1:255
	v_fma_f32 v20, -v20, v26, v24
	v_fma_f32 v14, -v19, v25, v23
	v_fmac_f32_e32 v25, v14, v21
	ds_load_2addr_stride64_b32 v[13:14], v13 offset0:16 offset1:32
	v_fma_f32 v19, -v19, v25, v23
	s_delay_alu instid0(VALU_DEP_1) | instskip(SKIP_2) | instid1(VALU_DEP_2)
	v_div_fmas_f32 v19, v19, v21, v25
	s_mov_b32 vcc_lo, s7
	v_div_fmas_f32 v20, v20, v22, v26
	v_div_fixup_f32 v5, v19, v5, v17
	s_delay_alu instid0(VALU_DEP_2) | instskip(SKIP_1) | instid1(VALU_DEP_2)
	v_div_fixup_f32 v8, v20, v10, v8
	s_waitcnt lgkmcnt(1)
	v_fma_f32 v10, -v5, v11, v12
	v_fma_f32 v6, -v5, v7, v6
	v_mul_f32_e64 v5, v5, -v18
	v_add_nc_u32_e32 v7, 0xfc, v15
	s_waitcnt lgkmcnt(0)
	v_fma_f32 v10, -v8, v14, v10
	v_fma_f32 v6, -v8, v9, v6
	v_mul_f32_e64 v8, v8, -v13
	ds_store_b32 v15, v10 offset:8188
	ds_store_b32 v16, v5
	ds_store_2addr_stride64_b32 v7, v6, v8 offset0:7 offset1:15
.LBB18_10:
	s_or_b32 exec_lo, exec_lo, s8
	v_cmp_gt_u32_e64 s8, 8, v0
	s_waitcnt lgkmcnt(0)
	s_barrier
	buffer_gl0_inv
	s_and_saveexec_b32 s9, s8
	s_cbranch_execz .LBB18_12
; %bb.11:
	v_lshl_or_b32 v5, v4, 6, 31
	v_lshlrev_b32_e32 v15, 8, v4
	s_delay_alu instid0(VALU_DEP_2) | instskip(NEXT) | instid1(VALU_DEP_2)
	v_min_u32_e32 v5, 0x1ff, v5
	v_add_nc_u32_e32 v6, 0x400, v15
	v_add_nc_u32_e32 v16, -4, v15
	v_add_nc_u32_e32 v7, 0xc00, v15
	s_delay_alu instid0(VALU_DEP_4)
	v_lshlrev_b32_e32 v13, 2, v5
	ds_load_2addr_b32 v[5:6], v6 offset0:223 offset1:255
	ds_load_b32 v17, v16
	ds_load_2addr_b32 v[7:8], v7 offset0:223 offset1:255
	ds_load_2addr_stride64_b32 v[9:10], v13 offset1:8
	s_waitcnt lgkmcnt(2)
	v_div_scale_f32 v19, null, v5, v5, v17
	s_waitcnt lgkmcnt(0)
	v_div_scale_f32 v20, null, v10, v10, v8
	v_div_scale_f32 v23, vcc_lo, v17, v5, v17
	s_delay_alu instid0(VALU_DEP_3) | instskip(NEXT) | instid1(VALU_DEP_2)
	v_rcp_f32_e32 v21, v19
	v_rcp_f32_e32 v22, v20
	v_div_scale_f32 v24, s7, v8, v10, v8
	s_waitcnt_depctr 0xfff
	v_fma_f32 v12, -v20, v22, 1.0
	s_delay_alu instid0(VALU_DEP_1) | instskip(NEXT) | instid1(VALU_DEP_1)
	v_dual_fmac_f32 v22, v12, v22 :: v_dual_add_nc_u32 v11, 0xffffff7c, v15
	v_mul_f32_e32 v26, v24, v22
	ds_load_b32 v18, v11
	v_fma_f32 v11, -v19, v21, 1.0
	v_fma_f32 v27, -v20, v26, v24
	s_delay_alu instid0(VALU_DEP_2) | instskip(NEXT) | instid1(VALU_DEP_2)
	v_fmac_f32_e32 v21, v11, v21
	v_dual_fmac_f32 v26, v27, v22 :: v_dual_add_nc_u32 v11, 0x1c00, v15
	s_delay_alu instid0(VALU_DEP_2) | instskip(SKIP_3) | instid1(VALU_DEP_1)
	v_mul_f32_e32 v25, v23, v21
	ds_load_2addr_b32 v[11:12], v11 offset0:223 offset1:255
	v_fma_f32 v20, -v20, v26, v24
	v_fma_f32 v14, -v19, v25, v23
	v_fmac_f32_e32 v25, v14, v21
	ds_load_2addr_stride64_b32 v[13:14], v13 offset0:16 offset1:32
	v_fma_f32 v19, -v19, v25, v23
	s_delay_alu instid0(VALU_DEP_1) | instskip(SKIP_2) | instid1(VALU_DEP_2)
	v_div_fmas_f32 v19, v19, v21, v25
	s_mov_b32 vcc_lo, s7
	v_div_fmas_f32 v20, v20, v22, v26
	v_div_fixup_f32 v5, v19, v5, v17
	s_delay_alu instid0(VALU_DEP_2) | instskip(SKIP_1) | instid1(VALU_DEP_2)
	v_div_fixup_f32 v8, v20, v10, v8
	s_waitcnt lgkmcnt(1)
	v_fma_f32 v10, -v5, v11, v12
	v_fma_f32 v6, -v5, v7, v6
	v_mul_f32_e64 v5, v5, -v18
	v_add_nc_u32_e32 v7, 0xfc, v15
	s_waitcnt lgkmcnt(0)
	v_fma_f32 v10, -v8, v14, v10
	v_fma_f32 v6, -v8, v9, v6
	v_mul_f32_e64 v8, v8, -v13
	ds_store_b32 v15, v10 offset:8188
	ds_store_b32 v16, v5
	ds_store_2addr_stride64_b32 v7, v6, v8 offset0:7 offset1:15
.LBB18_12:
	s_or_b32 exec_lo, exec_lo, s9
	v_cmp_gt_u32_e64 s9, 4, v0
	s_waitcnt lgkmcnt(0)
	s_barrier
	buffer_gl0_inv
	s_and_saveexec_b32 s10, s9
	s_cbranch_execz .LBB18_14
; %bb.13:
	v_lshl_or_b32 v5, v4, 7, 63
	v_lshlrev_b32_e32 v15, 9, v4
	s_delay_alu instid0(VALU_DEP_2) | instskip(NEXT) | instid1(VALU_DEP_2)
	v_min_u32_e32 v5, 0x1ff, v5
	v_add_nc_u32_e32 v16, -4, v15
	v_add_nc_u32_e32 v17, 0xfc, v15
	v_add_nc_u32_e32 v14, 0xfffffefc, v15
	s_delay_alu instid0(VALU_DEP_4)
	v_lshlrev_b32_e32 v13, 2, v5
	ds_load_b32 v18, v16
	ds_load_2addr_stride64_b32 v[5:6], v17 offset0:6 offset1:7
	ds_load_2addr_stride64_b32 v[7:8], v13 offset1:8
	ds_load_2addr_stride64_b32 v[9:10], v17 offset0:14 offset1:15
	ds_load_2addr_stride64_b32 v[11:12], v17 offset0:30 offset1:31
	ds_load_b32 v19, v14
	s_waitcnt lgkmcnt(4)
	v_div_scale_f32 v20, null, v5, v5, v18
	s_waitcnt lgkmcnt(2)
	v_div_scale_f32 v21, null, v8, v8, v10
	v_div_scale_f32 v25, vcc_lo, v18, v5, v18
	s_delay_alu instid0(VALU_DEP_3) | instskip(NEXT) | instid1(VALU_DEP_2)
	v_rcp_f32_e32 v22, v20
	v_rcp_f32_e32 v23, v21
	v_div_scale_f32 v26, s7, v10, v8, v10
	s_waitcnt_depctr 0xfff
	v_fma_f32 v14, -v20, v22, 1.0
	v_fma_f32 v24, -v21, v23, 1.0
	s_delay_alu instid0(VALU_DEP_1) | instskip(NEXT) | instid1(VALU_DEP_1)
	v_dual_fmac_f32 v22, v14, v22 :: v_dual_fmac_f32 v23, v24, v23
	v_dual_mul_f32 v24, v25, v22 :: v_dual_mul_f32 v27, v26, v23
	s_delay_alu instid0(VALU_DEP_1) | instskip(NEXT) | instid1(VALU_DEP_2)
	v_fma_f32 v14, -v20, v24, v25
	v_fma_f32 v28, -v21, v27, v26
	s_delay_alu instid0(VALU_DEP_1) | instskip(SKIP_3) | instid1(VALU_DEP_2)
	v_dual_fmac_f32 v24, v14, v22 :: v_dual_fmac_f32 v27, v28, v23
	ds_load_2addr_stride64_b32 v[13:14], v13 offset0:16 offset1:32
	v_fma_f32 v20, -v20, v24, v25
	v_fma_f32 v21, -v21, v27, v26
	v_div_fmas_f32 v20, v20, v22, v24
	s_mov_b32 vcc_lo, s7
	s_delay_alu instid0(VALU_DEP_2) | instskip(NEXT) | instid1(VALU_DEP_2)
	v_div_fmas_f32 v21, v21, v23, v27
	v_div_fixup_f32 v5, v20, v5, v18
	s_delay_alu instid0(VALU_DEP_2) | instskip(SKIP_1) | instid1(VALU_DEP_2)
	v_div_fixup_f32 v8, v21, v8, v10
	s_waitcnt lgkmcnt(2)
	v_fma_f32 v10, -v5, v11, v12
	v_fma_f32 v6, -v5, v9, v6
	s_waitcnt lgkmcnt(1)
	v_mul_f32_e64 v5, v5, -v19
	s_waitcnt lgkmcnt(0)
	v_fma_f32 v9, -v8, v14, v10
	v_fma_f32 v6, -v8, v7, v6
	v_mul_f32_e64 v7, v8, -v13
	ds_store_b32 v15, v9 offset:8188
	ds_store_b32 v16, v5
	ds_store_2addr_stride64_b32 v17, v6, v7 offset0:7 offset1:15
.LBB18_14:
	s_or_b32 exec_lo, exec_lo, s10
	v_cmp_gt_u32_e64 s10, 2, v0
	s_waitcnt lgkmcnt(0)
	s_barrier
	buffer_gl0_inv
	s_and_saveexec_b32 s11, s10
	s_cbranch_execz .LBB18_16
; %bb.15:
	v_lshl_or_b32 v5, v4, 8, 0x7f
	v_lshlrev_b32_e32 v14, 10, v4
	s_delay_alu instid0(VALU_DEP_2) | instskip(NEXT) | instid1(VALU_DEP_2)
	v_min_u32_e32 v4, 0x1ff, v5
	v_add_nc_u32_e32 v15, 0xfc, v14
	v_add_nc_u32_e32 v16, -4, v14
	v_add_nc_u32_e32 v10, 0xfffffdfc, v14
	s_delay_alu instid0(VALU_DEP_4)
	v_lshlrev_b32_e32 v12, 2, v4
	ds_load_2addr_stride64_b32 v[4:5], v15 offset0:5 offset1:7
	ds_load_b32 v17, v16
	ds_load_2addr_stride64_b32 v[6:7], v15 offset0:13 offset1:15
	ds_load_2addr_stride64_b32 v[8:9], v12 offset1:8
	ds_load_b32 v18, v10
	s_waitcnt lgkmcnt(3)
	v_div_scale_f32 v19, null, v4, v4, v17
	s_waitcnt lgkmcnt(1)
	v_div_scale_f32 v20, null, v9, v9, v7
	v_div_scale_f32 v23, vcc_lo, v17, v4, v17
	s_delay_alu instid0(VALU_DEP_3) | instskip(NEXT) | instid1(VALU_DEP_2)
	v_rcp_f32_e32 v21, v19
	v_rcp_f32_e32 v22, v20
	v_div_scale_f32 v24, s7, v7, v9, v7
	s_waitcnt_depctr 0xfff
	v_fma_f32 v10, -v19, v21, 1.0
	v_fma_f32 v11, -v20, v22, 1.0
	s_delay_alu instid0(VALU_DEP_1) | instskip(SKIP_2) | instid1(VALU_DEP_1)
	v_dual_fmac_f32 v21, v10, v21 :: v_dual_fmac_f32 v22, v11, v22
	ds_load_2addr_stride64_b32 v[10:11], v15 offset0:29 offset1:31
	v_dual_mul_f32 v25, v23, v21 :: v_dual_mul_f32 v26, v24, v22
	v_fma_f32 v13, -v19, v25, v23
	s_delay_alu instid0(VALU_DEP_2) | instskip(NEXT) | instid1(VALU_DEP_1)
	v_fma_f32 v27, -v20, v26, v24
	v_dual_fmac_f32 v25, v13, v21 :: v_dual_fmac_f32 v26, v27, v22
	ds_load_2addr_stride64_b32 v[12:13], v12 offset0:16 offset1:32
	v_fma_f32 v19, -v19, v25, v23
	v_fma_f32 v20, -v20, v26, v24
	s_delay_alu instid0(VALU_DEP_2) | instskip(SKIP_1) | instid1(VALU_DEP_2)
	v_div_fmas_f32 v19, v19, v21, v25
	s_mov_b32 vcc_lo, s7
	v_div_fmas_f32 v20, v20, v22, v26
	s_delay_alu instid0(VALU_DEP_2) | instskip(NEXT) | instid1(VALU_DEP_2)
	v_div_fixup_f32 v4, v19, v4, v17
	v_div_fixup_f32 v7, v20, v9, v7
	s_waitcnt lgkmcnt(1)
	s_delay_alu instid0(VALU_DEP_2) | instskip(SKIP_3) | instid1(VALU_DEP_3)
	v_fma_f32 v9, -v4, v10, v11
	v_fma_f32 v5, -v4, v6, v5
	v_mul_f32_e64 v4, v4, -v18
	s_waitcnt lgkmcnt(0)
	v_fma_f32 v6, -v7, v13, v9
	s_delay_alu instid0(VALU_DEP_3)
	v_fma_f32 v5, -v7, v8, v5
	v_mul_f32_e64 v7, v7, -v12
	ds_store_b32 v14, v6 offset:8188
	ds_store_b32 v16, v4
	ds_store_2addr_stride64_b32 v15, v5, v7 offset0:7 offset1:15
.LBB18_16:
	s_or_b32 exec_lo, exec_lo, s11
	v_cmp_ne_u32_e64 s7, 0, v0
	s_mov_b32 s11, exec_lo
	s_waitcnt lgkmcnt(0)
	s_barrier
	buffer_gl0_inv
	v_cmpx_eq_u32_e32 0, v0
	s_cbranch_execz .LBB18_18
; %bb.17:
	v_add_nc_u32_e64 v10, 0xfc, 0
	ds_load_2addr_stride64_b32 v[4:5], v10 offset0:15 offset1:19
	ds_load_2addr_stride64_b32 v[6:7], v10 offset0:7 offset1:11
	s_waitcnt lgkmcnt(0)
	v_mul_f32_e32 v8, v5, v6
	s_delay_alu instid0(VALU_DEP_1) | instskip(NEXT) | instid1(VALU_DEP_1)
	v_fma_f32 v11, v4, v7, -v8
	v_div_scale_f32 v12, null, v11, v11, 1.0
	v_div_scale_f32 v14, vcc_lo, 1.0, v11, 1.0
	s_delay_alu instid0(VALU_DEP_2) | instskip(SKIP_2) | instid1(VALU_DEP_1)
	v_rcp_f32_e32 v13, v12
	s_waitcnt_depctr 0xfff
	v_fma_f32 v8, -v12, v13, 1.0
	v_fmac_f32_e32 v13, v8, v13
	ds_load_2addr_stride64_b32 v[8:9], v10 offset0:35 offset1:39
	s_waitcnt lgkmcnt(0)
	v_mul_f32_e32 v6, v6, v8
	v_mul_f32_e32 v15, v14, v13
	v_mul_f32_e32 v5, v5, v9
	s_delay_alu instid0(VALU_DEP_3) | instskip(NEXT) | instid1(VALU_DEP_3)
	v_fma_f32 v6, v7, v9, -v6
	v_fma_f32 v16, -v12, v15, v14
	s_delay_alu instid0(VALU_DEP_3) | instskip(NEXT) | instid1(VALU_DEP_2)
	v_fma_f32 v4, v4, v8, -v5
	v_fmac_f32_e32 v15, v16, v13
	s_delay_alu instid0(VALU_DEP_1) | instskip(NEXT) | instid1(VALU_DEP_1)
	v_fma_f32 v12, -v12, v15, v14
	v_div_fmas_f32 v12, v12, v13, v15
	s_delay_alu instid0(VALU_DEP_1) | instskip(NEXT) | instid1(VALU_DEP_1)
	v_div_fixup_f32 v5, v12, v11, 1.0
	v_mul_f32_e32 v4, v5, v4
	v_mul_f32_e32 v5, v5, v6
	ds_store_2addr_stride64_b32 v10, v4, v5 offset0:27 offset1:31
.LBB18_18:
	s_or_b32 exec_lo, exec_lo, s11
	s_load_b64 s[12:13], s[0:1], 0x30
	s_waitcnt lgkmcnt(0)
	s_barrier
	buffer_gl0_inv
	s_and_saveexec_b32 s11, s10
	s_cbranch_execz .LBB18_24
; %bb.19:
	v_lshlrev_b32_e32 v4, 8, v0
                                        ; implicit-def: $vgpr5
	s_delay_alu instid0(VALU_DEP_1) | instskip(SKIP_1) | instid1(SALU_CYCLE_1)
	v_lshlrev_b32_e32 v4, 2, v4
	s_and_saveexec_b32 s10, s7
	s_xor_b32 s10, exec_lo, s10
	s_cbranch_execz .LBB18_21
; %bb.20:
	s_delay_alu instid0(VALU_DEP_1)
	v_add_nc_u32_e32 v5, 0xfc, v4
	ds_load_b32 v7, v4 offset:8700
	ds_load_2addr_stride64_b32 v[5:6], v5 offset0:1 offset1:23
	s_waitcnt lgkmcnt(0)
	v_fma_f32 v5, -v5, v6, v7
.LBB18_21:
	s_and_not1_saveexec_b32 s10, s10
	s_cbranch_execz .LBB18_23
; %bb.22:
	ds_load_b32 v5, v4 offset:8700
.LBB18_23:
	s_or_b32 exec_lo, exec_lo, s10
	v_add_nc_u32_e32 v6, 0xfc, v4
	ds_load_b32 v8, v4 offset:7164
	ds_load_2addr_stride64_b32 v[6:7], v6 offset0:9 offset1:17
	s_waitcnt lgkmcnt(0)
	v_fma_f32 v5, -v7, v8, v5
	s_delay_alu instid0(VALU_DEP_1) | instskip(NEXT) | instid1(VALU_DEP_1)
	v_div_scale_f32 v7, null, v6, v6, v5
	v_rcp_f32_e32 v8, v7
	s_waitcnt_depctr 0xfff
	v_fma_f32 v9, -v7, v8, 1.0
	s_delay_alu instid0(VALU_DEP_1) | instskip(SKIP_1) | instid1(VALU_DEP_1)
	v_fmac_f32_e32 v8, v9, v8
	v_div_scale_f32 v9, vcc_lo, v5, v6, v5
	v_mul_f32_e32 v10, v9, v8
	s_delay_alu instid0(VALU_DEP_1) | instskip(NEXT) | instid1(VALU_DEP_1)
	v_fma_f32 v11, -v7, v10, v9
	v_fmac_f32_e32 v10, v11, v8
	s_delay_alu instid0(VALU_DEP_1) | instskip(NEXT) | instid1(VALU_DEP_1)
	v_fma_f32 v7, -v7, v10, v9
	v_div_fmas_f32 v7, v7, v8, v10
	s_delay_alu instid0(VALU_DEP_1)
	v_div_fixup_f32 v5, v7, v6, v5
	ds_store_b32 v4, v5 offset:6652
.LBB18_24:
	s_or_b32 exec_lo, exec_lo, s11
	v_or_b32_e32 v4, 0x1800, v3
	s_waitcnt lgkmcnt(0)
	s_barrier
	buffer_gl0_inv
	s_and_saveexec_b32 s10, s9
	s_cbranch_execz .LBB18_30
; %bb.25:
	v_lshlrev_b32_e32 v5, 7, v0
                                        ; implicit-def: $vgpr6
	s_delay_alu instid0(VALU_DEP_1) | instskip(SKIP_1) | instid1(SALU_CYCLE_1)
	v_lshlrev_b32_e32 v5, 2, v5
	s_and_saveexec_b32 s9, s7
	s_xor_b32 s9, exec_lo, s9
	s_cbranch_execz .LBB18_27
; %bb.26:
	s_delay_alu instid0(VALU_DEP_1)
	v_add_nc_u32_e32 v6, 0xfc, v5
	ds_load_b32 v8, v5 offset:8444
	ds_load_2addr_stride64_b32 v[6:7], v6 offset1:23
	s_waitcnt lgkmcnt(0)
	v_fma_f32 v6, -v6, v7, v8
.LBB18_27:
	s_and_not1_saveexec_b32 s9, s9
	s_cbranch_execz .LBB18_29
; %bb.28:
	ds_load_b32 v6, v5 offset:8444
.LBB18_29:
	s_or_b32 exec_lo, exec_lo, s9
	v_add_nc_u32_e32 v7, 0xfc, v5
	ds_load_b32 v9, v5 offset:6652
	ds_load_2addr_stride64_b32 v[7:8], v7 offset0:8 offset1:16
	s_waitcnt lgkmcnt(0)
	v_fma_f32 v6, -v8, v9, v6
	s_delay_alu instid0(VALU_DEP_1) | instskip(NEXT) | instid1(VALU_DEP_1)
	v_div_scale_f32 v8, null, v7, v7, v6
	v_rcp_f32_e32 v9, v8
	s_waitcnt_depctr 0xfff
	v_fma_f32 v10, -v8, v9, 1.0
	s_delay_alu instid0(VALU_DEP_1) | instskip(SKIP_1) | instid1(VALU_DEP_1)
	v_fmac_f32_e32 v9, v10, v9
	v_div_scale_f32 v10, vcc_lo, v6, v7, v6
	v_mul_f32_e32 v11, v10, v9
	s_delay_alu instid0(VALU_DEP_1) | instskip(NEXT) | instid1(VALU_DEP_1)
	v_fma_f32 v12, -v8, v11, v10
	v_fmac_f32_e32 v11, v12, v9
	s_delay_alu instid0(VALU_DEP_1) | instskip(NEXT) | instid1(VALU_DEP_1)
	v_fma_f32 v8, -v8, v11, v10
	v_div_fmas_f32 v8, v8, v9, v11
	s_delay_alu instid0(VALU_DEP_1)
	v_div_fixup_f32 v6, v8, v7, v6
	ds_store_b32 v5, v6 offset:6396
.LBB18_30:
	s_or_b32 exec_lo, exec_lo, s10
	s_waitcnt lgkmcnt(0)
	s_barrier
	buffer_gl0_inv
	s_and_saveexec_b32 s9, s8
	s_cbranch_execz .LBB18_36
; %bb.31:
	v_lshlrev_b32_e32 v5, 6, v0
                                        ; implicit-def: $vgpr6
	s_delay_alu instid0(VALU_DEP_1) | instskip(SKIP_1) | instid1(SALU_CYCLE_1)
	v_lshlrev_b32_e32 v5, 2, v5
	s_and_saveexec_b32 s8, s7
	s_xor_b32 s8, exec_lo, s8
	s_cbranch_execz .LBB18_33
; %bb.32:
	ds_load_b32 v6, v5 offset:124
	ds_load_b32 v7, v5 offset:8316
	ds_load_b32 v8, v5 offset:6140
	s_waitcnt lgkmcnt(0)
	v_fma_f32 v6, -v6, v8, v7
.LBB18_33:
	s_and_not1_saveexec_b32 s8, s8
	s_cbranch_execz .LBB18_35
; %bb.34:
	ds_load_b32 v6, v5 offset:8316
.LBB18_35:
	s_or_b32 exec_lo, exec_lo, s8
	v_add_nc_u32_e32 v7, 0x7c, v5
	ds_load_b32 v9, v5 offset:6396
	ds_load_2addr_stride64_b32 v[7:8], v7 offset0:8 offset1:16
	s_waitcnt lgkmcnt(0)
	v_fma_f32 v6, -v8, v9, v6
	s_delay_alu instid0(VALU_DEP_1) | instskip(NEXT) | instid1(VALU_DEP_1)
	v_div_scale_f32 v8, null, v7, v7, v6
	v_rcp_f32_e32 v9, v8
	s_waitcnt_depctr 0xfff
	v_fma_f32 v10, -v8, v9, 1.0
	s_delay_alu instid0(VALU_DEP_1) | instskip(SKIP_1) | instid1(VALU_DEP_1)
	v_fmac_f32_e32 v9, v10, v9
	v_div_scale_f32 v10, vcc_lo, v6, v7, v6
	v_mul_f32_e32 v11, v10, v9
	s_delay_alu instid0(VALU_DEP_1) | instskip(NEXT) | instid1(VALU_DEP_1)
	v_fma_f32 v12, -v8, v11, v10
	v_fmac_f32_e32 v11, v12, v9
	s_delay_alu instid0(VALU_DEP_1) | instskip(NEXT) | instid1(VALU_DEP_1)
	v_fma_f32 v8, -v8, v11, v10
	v_div_fmas_f32 v8, v8, v9, v11
	s_delay_alu instid0(VALU_DEP_1)
	v_div_fixup_f32 v6, v8, v7, v6
	ds_store_b32 v5, v6 offset:6268
.LBB18_36:
	s_or_b32 exec_lo, exec_lo, s9
	s_waitcnt lgkmcnt(0)
	s_barrier
	buffer_gl0_inv
	s_and_saveexec_b32 s8, s6
	s_cbranch_execz .LBB18_42
; %bb.37:
	v_lshlrev_b32_e32 v5, 5, v0
                                        ; implicit-def: $vgpr6
	s_delay_alu instid0(VALU_DEP_1) | instskip(SKIP_1) | instid1(SALU_CYCLE_1)
	v_lshlrev_b32_e32 v5, 2, v5
	s_and_saveexec_b32 s6, s7
	s_xor_b32 s6, exec_lo, s6
	s_cbranch_execz .LBB18_39
; %bb.38:
	ds_load_b32 v6, v5 offset:60
	ds_load_b32 v7, v5 offset:8252
	ds_load_b32 v8, v5 offset:6140
	s_waitcnt lgkmcnt(0)
	v_fma_f32 v6, -v6, v8, v7
.LBB18_39:
	s_and_not1_saveexec_b32 s6, s6
	s_cbranch_execz .LBB18_41
; %bb.40:
	ds_load_b32 v6, v5 offset:8252
.LBB18_41:
	s_or_b32 exec_lo, exec_lo, s6
	v_add_nc_u32_e32 v7, 60, v5
	ds_load_b32 v9, v5 offset:6268
	ds_load_2addr_stride64_b32 v[7:8], v7 offset0:8 offset1:16
	s_waitcnt lgkmcnt(0)
	v_fma_f32 v6, -v8, v9, v6
	s_delay_alu instid0(VALU_DEP_1) | instskip(NEXT) | instid1(VALU_DEP_1)
	v_div_scale_f32 v8, null, v7, v7, v6
	v_rcp_f32_e32 v9, v8
	s_waitcnt_depctr 0xfff
	v_fma_f32 v10, -v8, v9, 1.0
	s_delay_alu instid0(VALU_DEP_1) | instskip(SKIP_1) | instid1(VALU_DEP_1)
	v_fmac_f32_e32 v9, v10, v9
	v_div_scale_f32 v10, vcc_lo, v6, v7, v6
	v_mul_f32_e32 v11, v10, v9
	s_delay_alu instid0(VALU_DEP_1) | instskip(NEXT) | instid1(VALU_DEP_1)
	v_fma_f32 v12, -v8, v11, v10
	v_fmac_f32_e32 v11, v12, v9
	s_delay_alu instid0(VALU_DEP_1) | instskip(NEXT) | instid1(VALU_DEP_1)
	v_fma_f32 v8, -v8, v11, v10
	v_div_fmas_f32 v8, v8, v9, v11
	s_delay_alu instid0(VALU_DEP_1)
	v_div_fixup_f32 v6, v8, v7, v6
	ds_store_b32 v5, v6 offset:6204
.LBB18_42:
	;; [unrolled: 51-line block ×4, first 2 shown]
	s_or_b32 exec_lo, exec_lo, s5
	s_waitcnt lgkmcnt(0)
	s_barrier
	buffer_gl0_inv
	s_and_saveexec_b32 s4, s3
	s_cbranch_execz .LBB18_60
; %bb.55:
	v_lshlrev_b32_e32 v3, 2, v3
                                        ; implicit-def: $vgpr5
	s_and_saveexec_b32 s3, s7
	s_delay_alu instid0(SALU_CYCLE_1)
	s_xor_b32 s3, exec_lo, s3
	s_cbranch_execz .LBB18_57
; %bb.56:
	ds_load_b32 v5, v3 offset:4
	ds_load_b32 v6, v3 offset:8196
	;; [unrolled: 1-line block ×3, first 2 shown]
	s_waitcnt lgkmcnt(0)
	v_fma_f32 v5, -v5, v7, v6
.LBB18_57:
	s_and_not1_saveexec_b32 s3, s3
	s_cbranch_execz .LBB18_59
; %bb.58:
	ds_load_b32 v5, v3 offset:8196
.LBB18_59:
	s_or_b32 exec_lo, exec_lo, s3
	v_add_nc_u32_e32 v6, 4, v3
	ds_load_b32 v8, v3 offset:6156
	ds_load_2addr_stride64_b32 v[6:7], v6 offset0:8 offset1:16
	s_waitcnt lgkmcnt(0)
	v_fma_f32 v5, -v7, v8, v5
	s_delay_alu instid0(VALU_DEP_1) | instskip(NEXT) | instid1(VALU_DEP_1)
	v_div_scale_f32 v7, null, v6, v6, v5
	v_rcp_f32_e32 v8, v7
	s_waitcnt_depctr 0xfff
	v_fma_f32 v9, -v7, v8, 1.0
	s_delay_alu instid0(VALU_DEP_1) | instskip(SKIP_1) | instid1(VALU_DEP_1)
	v_fmac_f32_e32 v8, v9, v8
	v_div_scale_f32 v9, vcc_lo, v5, v6, v5
	v_mul_f32_e32 v10, v9, v8
	s_delay_alu instid0(VALU_DEP_1) | instskip(NEXT) | instid1(VALU_DEP_1)
	v_fma_f32 v11, -v7, v10, v9
	v_fmac_f32_e32 v10, v11, v8
	s_delay_alu instid0(VALU_DEP_1) | instskip(NEXT) | instid1(VALU_DEP_1)
	v_fma_f32 v7, -v7, v10, v9
	v_div_fmas_f32 v7, v7, v8, v10
	s_delay_alu instid0(VALU_DEP_1)
	v_div_fixup_f32 v5, v7, v6, v5
	ds_store_b32 v3, v5 offset:6148
.LBB18_60:
	s_or_b32 exec_lo, exec_lo, s4
	s_waitcnt lgkmcnt(0)
	s_barrier
	buffer_gl0_inv
	s_and_saveexec_b32 s3, s2
	s_cbranch_execz .LBB18_66
; %bb.61:
	v_lshlrev_b32_e32 v0, 1, v0
                                        ; implicit-def: $vgpr3
	s_delay_alu instid0(VALU_DEP_1) | instskip(SKIP_1) | instid1(SALU_CYCLE_1)
	v_lshlrev_b32_e32 v0, 2, v0
	s_and_saveexec_b32 s2, s7
	s_xor_b32 s2, exec_lo, s2
	s_cbranch_execz .LBB18_63
; %bb.62:
	ds_load_b32 v3, v0
	ds_load_b32 v5, v0 offset:8192
	ds_load_b32 v6, v0 offset:6140
	s_waitcnt lgkmcnt(0)
	v_fma_f32 v3, -v3, v6, v5
.LBB18_63:
	s_and_not1_saveexec_b32 s2, s2
	s_cbranch_execz .LBB18_65
; %bb.64:
	ds_load_b32 v3, v0 offset:8192
.LBB18_65:
	s_or_b32 exec_lo, exec_lo, s2
	ds_load_2addr_stride64_b32 v[5:6], v0 offset0:8 offset1:16
	ds_load_b32 v7, v0 offset:6148
	s_waitcnt lgkmcnt(0)
	v_fma_f32 v3, -v6, v7, v3
	s_delay_alu instid0(VALU_DEP_1) | instskip(NEXT) | instid1(VALU_DEP_1)
	v_div_scale_f32 v6, null, v5, v5, v3
	v_rcp_f32_e32 v7, v6
	s_waitcnt_depctr 0xfff
	v_fma_f32 v8, -v6, v7, 1.0
	s_delay_alu instid0(VALU_DEP_1) | instskip(SKIP_1) | instid1(VALU_DEP_1)
	v_fmac_f32_e32 v7, v8, v7
	v_div_scale_f32 v8, vcc_lo, v3, v5, v3
	v_mul_f32_e32 v9, v8, v7
	s_delay_alu instid0(VALU_DEP_1) | instskip(NEXT) | instid1(VALU_DEP_1)
	v_fma_f32 v10, -v6, v9, v8
	v_fmac_f32_e32 v9, v10, v7
	s_delay_alu instid0(VALU_DEP_1) | instskip(NEXT) | instid1(VALU_DEP_1)
	v_fma_f32 v6, -v6, v9, v8
	v_div_fmas_f32 v6, v6, v7, v9
	s_delay_alu instid0(VALU_DEP_1)
	v_div_fixup_f32 v3, v6, v5, v3
	ds_store_b32 v0, v3 offset:6144
.LBB18_66:
	s_or_b32 exec_lo, exec_lo, s3
	s_load_b32 s0, s[0:1], 0x8
	s_waitcnt lgkmcnt(0)
	s_barrier
	buffer_gl0_inv
	s_mul_i32 s15, s15, s0
	s_delay_alu instid0(SALU_CYCLE_1) | instskip(SKIP_3) | instid1(VALU_DEP_1)
	v_dual_mov_b32 v6, 0 :: v_dual_add_nc_u32 v5, s15, v1
	ds_load_2addr_stride64_b32 v[0:1], v4 offset1:4
	v_lshlrev_b64 v[3:4], 2, v[5:6]
	v_add_nc_u32_e32 v5, s15, v2
	v_lshlrev_b64 v[5:6], 2, v[5:6]
	s_delay_alu instid0(VALU_DEP_3) | instskip(NEXT) | instid1(VALU_DEP_4)
	v_add_co_u32 v2, vcc_lo, s12, v3
	v_add_co_ci_u32_e32 v3, vcc_lo, s13, v4, vcc_lo
	s_delay_alu instid0(VALU_DEP_3) | instskip(NEXT) | instid1(VALU_DEP_4)
	v_add_co_u32 v4, vcc_lo, s12, v5
	v_add_co_ci_u32_e32 v5, vcc_lo, s13, v6, vcc_lo
	s_waitcnt lgkmcnt(0)
	s_clause 0x1
	global_store_b32 v[2:3], v0, off
	global_store_b32 v[4:5], v1, off
	s_nop 0
	s_sendmsg sendmsg(MSG_DEALLOC_VGPRS)
	s_endpgm
	.section	.rodata,"a",@progbits
	.p2align	6, 0x0
	.amdhsa_kernel _ZN9rocsparseL48gtsv_nopivot_strided_batch_cr_pow2_stage2_kernelILj256EfEEviiiPKT0_S3_S3_S3_PS1_
		.amdhsa_group_segment_fixed_size 10240
		.amdhsa_private_segment_fixed_size 0
		.amdhsa_kernarg_size 312
		.amdhsa_user_sgpr_count 14
		.amdhsa_user_sgpr_dispatch_ptr 0
		.amdhsa_user_sgpr_queue_ptr 0
		.amdhsa_user_sgpr_kernarg_segment_ptr 1
		.amdhsa_user_sgpr_dispatch_id 0
		.amdhsa_user_sgpr_private_segment_size 0
		.amdhsa_wavefront_size32 1
		.amdhsa_uses_dynamic_stack 0
		.amdhsa_enable_private_segment 0
		.amdhsa_system_sgpr_workgroup_id_x 1
		.amdhsa_system_sgpr_workgroup_id_y 1
		.amdhsa_system_sgpr_workgroup_id_z 0
		.amdhsa_system_sgpr_workgroup_info 0
		.amdhsa_system_vgpr_workitem_id 0
		.amdhsa_next_free_vgpr 29
		.amdhsa_next_free_sgpr 16
		.amdhsa_reserve_vcc 1
		.amdhsa_float_round_mode_32 0
		.amdhsa_float_round_mode_16_64 0
		.amdhsa_float_denorm_mode_32 3
		.amdhsa_float_denorm_mode_16_64 3
		.amdhsa_dx10_clamp 1
		.amdhsa_ieee_mode 1
		.amdhsa_fp16_overflow 0
		.amdhsa_workgroup_processor_mode 1
		.amdhsa_memory_ordered 1
		.amdhsa_forward_progress 0
		.amdhsa_shared_vgpr_count 0
		.amdhsa_exception_fp_ieee_invalid_op 0
		.amdhsa_exception_fp_denorm_src 0
		.amdhsa_exception_fp_ieee_div_zero 0
		.amdhsa_exception_fp_ieee_overflow 0
		.amdhsa_exception_fp_ieee_underflow 0
		.amdhsa_exception_fp_ieee_inexact 0
		.amdhsa_exception_int_div_zero 0
	.end_amdhsa_kernel
	.section	.text._ZN9rocsparseL48gtsv_nopivot_strided_batch_cr_pow2_stage2_kernelILj256EfEEviiiPKT0_S3_S3_S3_PS1_,"axG",@progbits,_ZN9rocsparseL48gtsv_nopivot_strided_batch_cr_pow2_stage2_kernelILj256EfEEviiiPKT0_S3_S3_S3_PS1_,comdat
.Lfunc_end18:
	.size	_ZN9rocsparseL48gtsv_nopivot_strided_batch_cr_pow2_stage2_kernelILj256EfEEviiiPKT0_S3_S3_S3_PS1_, .Lfunc_end18-_ZN9rocsparseL48gtsv_nopivot_strided_batch_cr_pow2_stage2_kernelILj256EfEEviiiPKT0_S3_S3_S3_PS1_
                                        ; -- End function
	.section	.AMDGPU.csdata,"",@progbits
; Kernel info:
; codeLenInByte = 6056
; NumSgprs: 18
; NumVgprs: 29
; ScratchSize: 0
; MemoryBound: 0
; FloatMode: 240
; IeeeMode: 1
; LDSByteSize: 10240 bytes/workgroup (compile time only)
; SGPRBlocks: 2
; VGPRBlocks: 3
; NumSGPRsForWavesPerEU: 18
; NumVGPRsForWavesPerEU: 29
; Occupancy: 16
; WaveLimiterHint : 0
; COMPUTE_PGM_RSRC2:SCRATCH_EN: 0
; COMPUTE_PGM_RSRC2:USER_SGPR: 14
; COMPUTE_PGM_RSRC2:TRAP_HANDLER: 0
; COMPUTE_PGM_RSRC2:TGID_X_EN: 1
; COMPUTE_PGM_RSRC2:TGID_Y_EN: 1
; COMPUTE_PGM_RSRC2:TGID_Z_EN: 0
; COMPUTE_PGM_RSRC2:TIDIG_COMP_CNT: 0
	.section	.text._ZN9rocsparseL44gtsv_nopivot_strided_batch_pcr_stage1_kernelILj256EfEEviiiiPKT0_S3_S3_S3_PS1_S4_S4_S4_,"axG",@progbits,_ZN9rocsparseL44gtsv_nopivot_strided_batch_pcr_stage1_kernelILj256EfEEviiiiPKT0_S3_S3_S3_PS1_S4_S4_S4_,comdat
	.globl	_ZN9rocsparseL44gtsv_nopivot_strided_batch_pcr_stage1_kernelILj256EfEEviiiiPKT0_S3_S3_S3_PS1_S4_S4_S4_ ; -- Begin function _ZN9rocsparseL44gtsv_nopivot_strided_batch_pcr_stage1_kernelILj256EfEEviiiiPKT0_S3_S3_S3_PS1_S4_S4_S4_
	.p2align	8
	.type	_ZN9rocsparseL44gtsv_nopivot_strided_batch_pcr_stage1_kernelILj256EfEEviiiiPKT0_S3_S3_S3_PS1_S4_S4_S4_,@function
_ZN9rocsparseL44gtsv_nopivot_strided_batch_pcr_stage1_kernelILj256EfEEviiiiPKT0_S3_S3_S3_PS1_S4_S4_S4_: ; @_ZN9rocsparseL44gtsv_nopivot_strided_batch_pcr_stage1_kernelILj256EfEEviiiiPKT0_S3_S3_S3_PS1_S4_S4_S4_
; %bb.0:
	s_load_b64 s[8:9], s[0:1], 0x0
	v_lshl_or_b32 v0, s14, 8, v0
	s_mov_b32 s2, exec_lo
	s_waitcnt lgkmcnt(0)
	s_delay_alu instid0(VALU_DEP_1)
	v_cmpx_gt_i32_e64 s9, v0
	s_cbranch_execz .LBB19_2
; %bb.1:
	s_clause 0x2
	s_load_b32 s11, s[0:1], 0xc
	s_load_b256 s[16:23], s[0:1], 0x10
	s_load_b256 s[0:7], s[0:1], 0x30
	s_mul_i32 s10, s15, s9
	v_dual_mov_b32 v2, 0 :: v_dual_add_nc_u32 v7, s8, v0
	v_subrev_nc_u32_e32 v5, s8, v0
	v_ashrrev_i32_e32 v1, 31, v0
	s_delay_alu instid0(VALU_DEP_1) | instskip(NEXT) | instid1(VALU_DEP_3)
	v_lshlrev_b64 v[3:4], 2, v[0:1]
	v_max_i32_e32 v1, 0, v5
	s_waitcnt lgkmcnt(0)
	s_mul_i32 s12, s15, s11
	s_delay_alu instid0(SALU_CYCLE_1) | instskip(NEXT) | instid1(SALU_CYCLE_1)
	s_ashr_i32 s13, s12, 31
	s_lshl_b64 s[12:13], s[12:13], 2
	s_delay_alu instid0(SALU_CYCLE_1)
	s_add_u32 s8, s16, s12
	s_addc_u32 s14, s17, s13
	s_ashr_i32 s11, s10, 31
	v_add_co_u32 v5, vcc_lo, s8, v3
	s_lshl_b64 s[10:11], s[10:11], 2
	v_add_co_ci_u32_e32 v6, vcc_lo, s14, v4, vcc_lo
	s_add_u32 s15, s0, s10
	s_addc_u32 s16, s1, s11
	s_add_u32 s0, s18, s12
	s_addc_u32 s1, s19, s13
	;; [unrolled: 2-line block ×5, first 2 shown]
	s_add_u32 s12, s22, s12
	v_cmp_gt_i32_e32 vcc_lo, s9, v7
	s_addc_u32 s13, s23, s13
	s_add_u32 s6, s6, s10
	s_addc_u32 s7, s7, s11
	s_add_i32 s10, s9, -1
	s_delay_alu instid0(SALU_CYCLE_1)
	v_cndmask_b32_e32 v0, s10, v7, vcc_lo
	v_lshlrev_b64 v[7:8], 2, v[1:2]
	global_load_b32 v2, v[5:6], off
	v_ashrrev_i32_e32 v1, 31, v0
	v_add_co_u32 v5, vcc_lo, s0, v7
	v_add_co_ci_u32_e32 v6, vcc_lo, s1, v8, vcc_lo
	s_delay_alu instid0(VALU_DEP_3)
	v_lshlrev_b64 v[0:1], 2, v[0:1]
	v_add_co_u32 v9, vcc_lo, s17, v3
	v_add_co_ci_u32_e32 v10, vcc_lo, s18, v4, vcc_lo
	global_load_b32 v13, v[5:6], off
	v_add_co_u32 v5, vcc_lo, s0, v0
	v_add_co_ci_u32_e32 v6, vcc_lo, s1, v1, vcc_lo
	global_load_b32 v14, v[9:10], off
	global_load_b32 v15, v[5:6], off
	v_add_co_u32 v5, vcc_lo, s8, v7
	v_add_co_ci_u32_e32 v6, vcc_lo, s14, v8, vcc_lo
	v_add_co_u32 v9, vcc_lo, s0, v3
	v_add_co_ci_u32_e32 v10, vcc_lo, s1, v4, vcc_lo
	;; [unrolled: 2-line block ×3, first 2 shown]
	global_load_b32 v16, v[9:10], off
	v_add_co_u32 v9, vcc_lo, s12, v3
	v_add_co_ci_u32_e32 v10, vcc_lo, s13, v4, vcc_lo
	v_add_co_u32 v7, vcc_lo, s12, v7
	v_add_co_ci_u32_e32 v8, vcc_lo, s13, v8, vcc_lo
	global_load_b32 v17, v[11:12], off
	global_load_b32 v18, v[9:10], off
	v_add_co_u32 v9, vcc_lo, s12, v0
	v_add_co_ci_u32_e32 v10, vcc_lo, s13, v1, vcc_lo
	v_add_co_u32 v11, vcc_lo, s8, v0
	global_load_b32 v19, v[7:8], off
	v_add_co_ci_u32_e32 v12, vcc_lo, s14, v1, vcc_lo
	v_add_co_u32 v0, vcc_lo, s17, v0
	v_add_co_ci_u32_e32 v1, vcc_lo, s18, v1, vcc_lo
	s_clause 0x1
	global_load_b32 v20, v[5:6], off
	global_load_b32 v11, v[11:12], off
	;; [unrolled: 1-line block ×4, first 2 shown]
	s_waitcnt vmcnt(10)
	v_div_scale_f32 v0, null, v13, v13, v2
	v_div_scale_f32 v8, vcc_lo, v2, v13, v2
	s_delay_alu instid0(VALU_DEP_2) | instskip(SKIP_3) | instid1(VALU_DEP_2)
	v_rcp_f32_e32 v5, v0
	s_waitcnt vmcnt(8)
	v_div_scale_f32 v6, null, v15, v15, v14
	v_div_scale_f32 v21, s0, v14, v15, v14
	v_rcp_f32_e32 v7, v6
	s_waitcnt_depctr 0xfff
	v_fma_f32 v1, -v0, v5, 1.0
	s_delay_alu instid0(VALU_DEP_1) | instskip(SKIP_1) | instid1(VALU_DEP_1)
	v_fmac_f32_e32 v5, v1, v5
	v_fma_f32 v1, -v6, v7, 1.0
	v_dual_mul_f32 v12, v8, v5 :: v_dual_fmac_f32 v7, v1, v7
	s_delay_alu instid0(VALU_DEP_1) | instskip(NEXT) | instid1(VALU_DEP_2)
	v_fma_f32 v1, -v0, v12, v8
	v_mul_f32_e32 v22, v21, v7
	s_delay_alu instid0(VALU_DEP_2) | instskip(NEXT) | instid1(VALU_DEP_2)
	v_fmac_f32_e32 v12, v1, v5
	v_fma_f32 v1, -v6, v22, v21
	s_delay_alu instid0(VALU_DEP_2) | instskip(SKIP_1) | instid1(VALU_DEP_3)
	v_fma_f32 v8, -v0, v12, v8
	v_add_co_u32 v0, s1, s15, v3
	v_fmac_f32_e32 v22, v1, v7
	v_add_co_ci_u32_e64 v1, s1, s16, v4, s1
	s_delay_alu instid0(VALU_DEP_4) | instskip(SKIP_1) | instid1(VALU_DEP_4)
	v_div_fmas_f32 v8, v8, v5, v12
	v_add_co_u32 v5, vcc_lo, s2, v3
	v_fma_f32 v12, -v6, v22, v21
	v_add_co_ci_u32_e32 v6, vcc_lo, s3, v4, vcc_lo
	s_mov_b32 vcc_lo, s0
	v_div_fixup_f32 v13, v8, v13, v2
	s_delay_alu instid0(VALU_DEP_3)
	v_div_fmas_f32 v2, v12, v7, v22
	v_add_co_u32 v7, vcc_lo, s4, v3
	v_add_co_ci_u32_e32 v8, vcc_lo, s5, v4, vcc_lo
	s_waitcnt vmcnt(6)
	v_fma_f32 v12, -v13, v17, v16
	v_div_fixup_f32 v14, v2, v15, v14
	s_waitcnt vmcnt(4)
	v_fma_f32 v16, -v13, v19, v18
	v_add_co_u32 v2, vcc_lo, s6, v3
	v_add_co_ci_u32_e32 v3, vcc_lo, s7, v4, vcc_lo
	s_waitcnt vmcnt(3)
	v_mul_f32_e64 v4, v13, -v20
	s_waitcnt vmcnt(2)
	v_fma_f32 v11, -v14, v11, v12
	s_waitcnt vmcnt(1)
	v_fma_f32 v9, -v9, v14, v16
	s_waitcnt vmcnt(0)
	v_mul_f32_e64 v10, v14, -v10
	global_store_b32 v[0:1], v4, off
	global_store_b32 v[5:6], v11, off
	;; [unrolled: 1-line block ×4, first 2 shown]
.LBB19_2:
	s_nop 0
	s_sendmsg sendmsg(MSG_DEALLOC_VGPRS)
	s_endpgm
	.section	.rodata,"a",@progbits
	.p2align	6, 0x0
	.amdhsa_kernel _ZN9rocsparseL44gtsv_nopivot_strided_batch_pcr_stage1_kernelILj256EfEEviiiiPKT0_S3_S3_S3_PS1_S4_S4_S4_
		.amdhsa_group_segment_fixed_size 0
		.amdhsa_private_segment_fixed_size 0
		.amdhsa_kernarg_size 80
		.amdhsa_user_sgpr_count 14
		.amdhsa_user_sgpr_dispatch_ptr 0
		.amdhsa_user_sgpr_queue_ptr 0
		.amdhsa_user_sgpr_kernarg_segment_ptr 1
		.amdhsa_user_sgpr_dispatch_id 0
		.amdhsa_user_sgpr_private_segment_size 0
		.amdhsa_wavefront_size32 1
		.amdhsa_uses_dynamic_stack 0
		.amdhsa_enable_private_segment 0
		.amdhsa_system_sgpr_workgroup_id_x 1
		.amdhsa_system_sgpr_workgroup_id_y 1
		.amdhsa_system_sgpr_workgroup_id_z 0
		.amdhsa_system_sgpr_workgroup_info 0
		.amdhsa_system_vgpr_workitem_id 0
		.amdhsa_next_free_vgpr 23
		.amdhsa_next_free_sgpr 24
		.amdhsa_reserve_vcc 1
		.amdhsa_float_round_mode_32 0
		.amdhsa_float_round_mode_16_64 0
		.amdhsa_float_denorm_mode_32 3
		.amdhsa_float_denorm_mode_16_64 3
		.amdhsa_dx10_clamp 1
		.amdhsa_ieee_mode 1
		.amdhsa_fp16_overflow 0
		.amdhsa_workgroup_processor_mode 1
		.amdhsa_memory_ordered 1
		.amdhsa_forward_progress 0
		.amdhsa_shared_vgpr_count 0
		.amdhsa_exception_fp_ieee_invalid_op 0
		.amdhsa_exception_fp_denorm_src 0
		.amdhsa_exception_fp_ieee_div_zero 0
		.amdhsa_exception_fp_ieee_overflow 0
		.amdhsa_exception_fp_ieee_underflow 0
		.amdhsa_exception_fp_ieee_inexact 0
		.amdhsa_exception_int_div_zero 0
	.end_amdhsa_kernel
	.section	.text._ZN9rocsparseL44gtsv_nopivot_strided_batch_pcr_stage1_kernelILj256EfEEviiiiPKT0_S3_S3_S3_PS1_S4_S4_S4_,"axG",@progbits,_ZN9rocsparseL44gtsv_nopivot_strided_batch_pcr_stage1_kernelILj256EfEEviiiiPKT0_S3_S3_S3_PS1_S4_S4_S4_,comdat
.Lfunc_end19:
	.size	_ZN9rocsparseL44gtsv_nopivot_strided_batch_pcr_stage1_kernelILj256EfEEviiiiPKT0_S3_S3_S3_PS1_S4_S4_S4_, .Lfunc_end19-_ZN9rocsparseL44gtsv_nopivot_strided_batch_pcr_stage1_kernelILj256EfEEviiiiPKT0_S3_S3_S3_PS1_S4_S4_S4_
                                        ; -- End function
	.section	.AMDGPU.csdata,"",@progbits
; Kernel info:
; codeLenInByte = 840
; NumSgprs: 26
; NumVgprs: 23
; ScratchSize: 0
; MemoryBound: 0
; FloatMode: 240
; IeeeMode: 1
; LDSByteSize: 0 bytes/workgroup (compile time only)
; SGPRBlocks: 3
; VGPRBlocks: 2
; NumSGPRsForWavesPerEU: 26
; NumVGPRsForWavesPerEU: 23
; Occupancy: 16
; WaveLimiterHint : 0
; COMPUTE_PGM_RSRC2:SCRATCH_EN: 0
; COMPUTE_PGM_RSRC2:USER_SGPR: 14
; COMPUTE_PGM_RSRC2:TRAP_HANDLER: 0
; COMPUTE_PGM_RSRC2:TGID_X_EN: 1
; COMPUTE_PGM_RSRC2:TGID_Y_EN: 1
; COMPUTE_PGM_RSRC2:TGID_Z_EN: 0
; COMPUTE_PGM_RSRC2:TIDIG_COMP_CNT: 0
	.section	.text._ZN9rocsparseL44gtsv_nopivot_strided_batch_pcr_stage2_kernelILj512EfEEviiiPKT0_S3_S3_S3_PS1_,"axG",@progbits,_ZN9rocsparseL44gtsv_nopivot_strided_batch_pcr_stage2_kernelILj512EfEEviiiPKT0_S3_S3_S3_PS1_,comdat
	.globl	_ZN9rocsparseL44gtsv_nopivot_strided_batch_pcr_stage2_kernelILj512EfEEviiiPKT0_S3_S3_S3_PS1_ ; -- Begin function _ZN9rocsparseL44gtsv_nopivot_strided_batch_pcr_stage2_kernelILj512EfEEviiiPKT0_S3_S3_S3_PS1_
	.p2align	8
	.type	_ZN9rocsparseL44gtsv_nopivot_strided_batch_pcr_stage2_kernelILj512EfEEviiiPKT0_S3_S3_S3_PS1_,@function
_ZN9rocsparseL44gtsv_nopivot_strided_batch_pcr_stage2_kernelILj512EfEEviiiPKT0_S3_S3_S3_PS1_: ; @_ZN9rocsparseL44gtsv_nopivot_strided_batch_pcr_stage2_kernelILj512EfEEviiiPKT0_S3_S3_S3_PS1_
; %bb.0:
	s_clause 0x2
	s_load_b32 s2, s[0:1], 0x38
	s_load_b32 s3, s[0:1], 0x0
	s_load_b256 s[4:11], s[0:1], 0x10
	v_min_u32_e32 v24, 0x1fd, v0
	v_mov_b32_e32 v3, 0
	s_waitcnt lgkmcnt(0)
	v_mad_u64_u32 v[1:2], null, s2, v0, s[14:15]
	s_mul_i32 s12, s15, s3
	s_add_i32 s13, s14, s3
	s_delay_alu instid0(SALU_CYCLE_1) | instskip(NEXT) | instid1(VALU_DEP_1)
	s_add_i32 s13, s13, s12
	v_add_nc_u32_e32 v2, s12, v1
	s_sub_i32 s12, s13, s2
	v_cmp_gt_i32_e64 s2, s3, v1
	s_delay_alu instid0(VALU_DEP_1) | instskip(NEXT) | instid1(VALU_DEP_1)
	v_cndmask_b32_e64 v2, s12, v2, s2
	v_lshlrev_b64 v[2:3], 2, v[2:3]
	s_delay_alu instid0(VALU_DEP_1) | instskip(NEXT) | instid1(VALU_DEP_2)
	v_add_co_u32 v4, vcc_lo, s4, v2
	v_add_co_ci_u32_e32 v5, vcc_lo, s5, v3, vcc_lo
	v_add_co_u32 v6, vcc_lo, s6, v2
	v_add_co_ci_u32_e32 v7, vcc_lo, s7, v3, vcc_lo
	;; [unrolled: 2-line block ×4, first 2 shown]
	global_load_b32 v4, v[4:5], off
	global_load_b32 v5, v[6:7], off
	;; [unrolled: 1-line block ×4, first 2 shown]
	v_max_u32_e32 v2, 1, v0
	v_min_u32_e32 v7, 0x1fe, v0
	s_delay_alu instid0(VALU_DEP_2) | instskip(NEXT) | instid1(VALU_DEP_2)
	v_lshlrev_b32_e32 v11, 2, v2
	v_lshlrev_b32_e32 v7, 2, v7
	;; [unrolled: 1-line block ×3, first 2 shown]
	s_waitcnt vmcnt(2)
	ds_store_2addr_stride64_b32 v2, v4, v5 offset1:8
	s_waitcnt vmcnt(0)
	ds_store_2addr_stride64_b32 v2, v6, v3 offset0:16 offset1:32
	v_add_nc_u32_e32 v8, 0xfc, v11
	v_add_nc_u32_e32 v12, 4, v7
	s_waitcnt lgkmcnt(0)
	s_barrier
	buffer_gl0_inv
	ds_load_2addr_stride64_b32 v[3:4], v2 offset1:8
	ds_load_2addr_stride64_b32 v[5:6], v8 offset0:7 offset1:15
	ds_load_2addr_stride64_b32 v[7:8], v2 offset0:16 offset1:32
	ds_load_2addr_stride64_b32 v[9:10], v12 offset1:8
	s_waitcnt lgkmcnt(2)
	v_div_scale_f32 v13, null, v5, v5, v3
	s_waitcnt lgkmcnt(0)
	v_div_scale_f32 v14, null, v10, v10, v7
	v_div_scale_f32 v19, vcc_lo, v3, v5, v3
	s_delay_alu instid0(VALU_DEP_3) | instskip(NEXT) | instid1(VALU_DEP_2)
	v_rcp_f32_e32 v15, v13
	v_rcp_f32_e32 v16, v14
	s_waitcnt_depctr 0xfff
	v_fma_f32 v17, -v13, v15, 1.0
	v_fma_f32 v18, -v14, v16, 1.0
	s_delay_alu instid0(VALU_DEP_2) | instskip(SKIP_1) | instid1(VALU_DEP_3)
	v_fmac_f32_e32 v15, v17, v15
	v_div_scale_f32 v17, s3, v7, v10, v7
	v_fmac_f32_e32 v16, v18, v16
	s_delay_alu instid0(VALU_DEP_3) | instskip(NEXT) | instid1(VALU_DEP_2)
	v_mul_f32_e32 v18, v19, v15
	v_mul_f32_e32 v20, v17, v16
	s_delay_alu instid0(VALU_DEP_2) | instskip(NEXT) | instid1(VALU_DEP_2)
	v_fma_f32 v21, -v13, v18, v19
	v_fma_f32 v22, -v14, v20, v17
	v_add_nc_u32_e32 v23, -4, v11
	s_delay_alu instid0(VALU_DEP_3)
	v_fmac_f32_e32 v18, v21, v15
	ds_load_b32 v21, v11 offset:8188
	v_fmac_f32_e32 v20, v22, v16
	ds_load_b32 v22, v23
	ds_load_2addr_stride64_b32 v[11:12], v12 offset0:16 offset1:32
	v_fma_f32 v13, -v13, v18, v19
	v_max_u32_e32 v19, 2, v0
	s_waitcnt lgkmcnt(0)
	v_fma_f32 v14, -v14, v20, v17
	s_barrier
	v_div_fmas_f32 v13, v13, v15, v18
	s_mov_b32 vcc_lo, s3
	v_lshlrev_b32_e32 v15, 2, v19
	v_div_fmas_f32 v14, v14, v16, v20
	buffer_gl0_inv
	v_div_fixup_f32 v3, v13, v5, v3
	v_lshlrev_b32_e32 v5, 2, v24
	v_add_nc_u32_e32 v13, 0xf8, v15
	v_div_fixup_f32 v7, v14, v10, v7
	v_min_u32_e32 v24, 0x1fb, v0
	v_fma_f32 v4, -v3, v6, v4
	v_fma_f32 v6, -v3, v21, v8
	v_add_nc_u32_e32 v14, 8, v5
	v_mul_f32_e64 v3, v3, -v22
	v_mul_f32_e64 v5, v7, -v11
	v_fma_f32 v4, -v7, v9, v4
	v_fma_f32 v6, -v7, v12, v6
	ds_store_2addr_stride64_b32 v2, v3, v4 offset1:8
	ds_store_2addr_stride64_b32 v2, v5, v6 offset0:16 offset1:32
	s_waitcnt lgkmcnt(0)
	s_barrier
	buffer_gl0_inv
	ds_load_2addr_stride64_b32 v[3:4], v2 offset1:8
	ds_load_2addr_stride64_b32 v[5:6], v13 offset0:7 offset1:15
	ds_load_2addr_stride64_b32 v[7:8], v2 offset0:16 offset1:32
	ds_load_2addr_stride64_b32 v[9:10], v14 offset1:8
	s_waitcnt lgkmcnt(2)
	v_div_scale_f32 v13, null, v5, v5, v3
	s_waitcnt lgkmcnt(0)
	v_div_scale_f32 v16, null, v10, v10, v7
	v_div_scale_f32 v19, vcc_lo, v3, v5, v3
	s_delay_alu instid0(VALU_DEP_3) | instskip(NEXT) | instid1(VALU_DEP_2)
	v_rcp_f32_e32 v17, v13
	v_rcp_f32_e32 v18, v16
	v_div_scale_f32 v20, s3, v7, v10, v7
	s_waitcnt_depctr 0xfff
	v_fma_f32 v11, -v13, v17, 1.0
	v_fma_f32 v12, -v16, v18, 1.0
	s_delay_alu instid0(VALU_DEP_1) | instskip(NEXT) | instid1(VALU_DEP_1)
	v_dual_fmac_f32 v17, v11, v17 :: v_dual_fmac_f32 v18, v12, v18
	v_dual_mul_f32 v21, v19, v17 :: v_dual_mul_f32 v22, v20, v18
	s_delay_alu instid0(VALU_DEP_1) | instskip(NEXT) | instid1(VALU_DEP_2)
	v_fma_f32 v11, -v13, v21, v19
	v_fma_f32 v12, -v16, v22, v20
	v_add_nc_u32_e32 v23, -8, v15
	ds_load_b32 v15, v15 offset:8184
	v_dual_fmac_f32 v21, v11, v17 :: v_dual_fmac_f32 v22, v12, v18
	ds_load_b32 v23, v23
	ds_load_2addr_stride64_b32 v[11:12], v14 offset0:16 offset1:32
	v_max_u32_e32 v14, 4, v0
	s_waitcnt lgkmcnt(0)
	v_fma_f32 v13, -v13, v21, v19
	v_fma_f32 v16, -v16, v22, v20
	s_barrier
	v_lshlrev_b32_e32 v14, 2, v14
	buffer_gl0_inv
	v_div_fmas_f32 v13, v13, v17, v21
	s_mov_b32 vcc_lo, s3
	v_div_fmas_f32 v16, v16, v18, v22
	s_delay_alu instid0(VALU_DEP_2) | instskip(SKIP_2) | instid1(VALU_DEP_4)
	v_div_fixup_f32 v3, v13, v5, v3
	v_lshlrev_b32_e32 v5, 2, v24
	v_add_nc_u32_e32 v13, 0xf0, v14
	v_div_fixup_f32 v7, v16, v10, v7
	v_min_u32_e32 v24, 0x1f7, v0
	v_fma_f32 v4, -v3, v6, v4
	v_fma_f32 v6, -v3, v15, v8
	v_mul_f32_e64 v3, v3, -v23
	v_add_nc_u32_e32 v15, 16, v5
	v_mul_f32_e64 v5, v7, -v11
	v_fma_f32 v4, -v7, v9, v4
	v_fma_f32 v6, -v7, v12, v6
	ds_store_2addr_stride64_b32 v2, v3, v4 offset1:8
	ds_store_2addr_stride64_b32 v2, v5, v6 offset0:16 offset1:32
	s_waitcnt lgkmcnt(0)
	s_barrier
	buffer_gl0_inv
	ds_load_2addr_stride64_b32 v[3:4], v2 offset1:8
	ds_load_2addr_stride64_b32 v[5:6], v13 offset0:7 offset1:15
	ds_load_2addr_stride64_b32 v[7:8], v2 offset0:16 offset1:32
	ds_load_2addr_stride64_b32 v[9:10], v15 offset1:8
	s_waitcnt lgkmcnt(2)
	v_div_scale_f32 v13, null, v5, v5, v3
	s_waitcnt lgkmcnt(0)
	v_div_scale_f32 v16, null, v10, v10, v7
	v_div_scale_f32 v20, s3, v7, v10, v7
	s_delay_alu instid0(VALU_DEP_3) | instskip(NEXT) | instid1(VALU_DEP_2)
	v_rcp_f32_e32 v17, v13
	v_rcp_f32_e32 v18, v16
	v_div_scale_f32 v19, vcc_lo, v3, v5, v3
	s_waitcnt_depctr 0xfff
	v_fma_f32 v11, -v13, v17, 1.0
	v_fma_f32 v12, -v16, v18, 1.0
	s_delay_alu instid0(VALU_DEP_1) | instskip(SKIP_3) | instid1(VALU_DEP_1)
	v_dual_fmac_f32 v17, v11, v17 :: v_dual_fmac_f32 v18, v12, v18
	v_add_nc_u32_e32 v23, -16, v14
	ds_load_b32 v14, v14 offset:8176
	v_mul_f32_e32 v22, v20, v18
	v_fma_f32 v12, -v16, v22, v20
	s_delay_alu instid0(VALU_DEP_1) | instskip(NEXT) | instid1(VALU_DEP_1)
	v_dual_mul_f32 v21, v19, v17 :: v_dual_fmac_f32 v22, v12, v18
	v_fma_f32 v11, -v13, v21, v19
	s_delay_alu instid0(VALU_DEP_2) | instskip(NEXT) | instid1(VALU_DEP_2)
	v_fma_f32 v16, -v16, v22, v20
	v_fmac_f32_e32 v21, v11, v17
	ds_load_b32 v23, v23
	ds_load_2addr_stride64_b32 v[11:12], v15 offset0:16 offset1:32
	v_max_u32_e32 v15, 8, v0
	s_waitcnt lgkmcnt(0)
	s_barrier
	v_fma_f32 v13, -v13, v21, v19
	buffer_gl0_inv
	v_lshlrev_b32_e32 v15, 2, v15
	v_div_fmas_f32 v13, v13, v17, v21
	s_mov_b32 vcc_lo, s3
	v_div_fmas_f32 v16, v16, v18, v22
	s_delay_alu instid0(VALU_DEP_2) | instskip(SKIP_2) | instid1(VALU_DEP_4)
	v_div_fixup_f32 v3, v13, v5, v3
	v_lshlrev_b32_e32 v5, 2, v24
	v_add_nc_u32_e32 v13, 0xe0, v15
	v_div_fixup_f32 v7, v16, v10, v7
	v_min_u32_e32 v24, 0x1ef, v0
	v_fma_f32 v4, -v3, v6, v4
	v_fma_f32 v6, -v3, v14, v8
	v_mul_f32_e64 v3, v3, -v23
	v_add_nc_u32_e32 v14, 32, v5
	v_mul_f32_e64 v5, v7, -v11
	v_fma_f32 v4, -v7, v9, v4
	v_fma_f32 v6, -v7, v12, v6
	ds_store_2addr_stride64_b32 v2, v3, v4 offset1:8
	ds_store_2addr_stride64_b32 v2, v5, v6 offset0:16 offset1:32
	s_waitcnt lgkmcnt(0)
	s_barrier
	buffer_gl0_inv
	ds_load_2addr_stride64_b32 v[3:4], v2 offset1:8
	ds_load_2addr_stride64_b32 v[5:6], v13 offset0:7 offset1:15
	ds_load_2addr_stride64_b32 v[7:8], v2 offset0:16 offset1:32
	ds_load_2addr_stride64_b32 v[9:10], v14 offset1:8
	s_waitcnt lgkmcnt(2)
	v_div_scale_f32 v13, null, v5, v5, v3
	s_waitcnt lgkmcnt(0)
	v_div_scale_f32 v16, null, v10, v10, v7
	v_div_scale_f32 v19, vcc_lo, v3, v5, v3
	s_delay_alu instid0(VALU_DEP_3) | instskip(NEXT) | instid1(VALU_DEP_2)
	v_rcp_f32_e32 v17, v13
	v_rcp_f32_e32 v18, v16
	v_div_scale_f32 v20, s3, v7, v10, v7
	s_waitcnt_depctr 0xfff
	v_fma_f32 v11, -v13, v17, 1.0
	v_fma_f32 v12, -v16, v18, 1.0
	s_delay_alu instid0(VALU_DEP_1) | instskip(NEXT) | instid1(VALU_DEP_1)
	v_dual_fmac_f32 v17, v11, v17 :: v_dual_fmac_f32 v18, v12, v18
	v_dual_mul_f32 v21, v19, v17 :: v_dual_mul_f32 v22, v20, v18
	v_subrev_nc_u32_e32 v23, 32, v15
	ds_load_b32 v15, v15 offset:8160
	v_fma_f32 v11, -v13, v21, v19
	v_fma_f32 v12, -v16, v22, v20
	s_delay_alu instid0(VALU_DEP_1)
	v_dual_fmac_f32 v21, v11, v17 :: v_dual_fmac_f32 v22, v12, v18
	ds_load_b32 v23, v23
	ds_load_2addr_stride64_b32 v[11:12], v14 offset0:16 offset1:32
	v_max_u32_e32 v14, 16, v0
	s_waitcnt lgkmcnt(0)
	v_fma_f32 v13, -v13, v21, v19
	v_fma_f32 v16, -v16, v22, v20
	s_barrier
	v_lshlrev_b32_e32 v14, 2, v14
	buffer_gl0_inv
	v_div_fmas_f32 v13, v13, v17, v21
	s_mov_b32 vcc_lo, s3
	v_div_fmas_f32 v16, v16, v18, v22
	s_delay_alu instid0(VALU_DEP_2) | instskip(SKIP_2) | instid1(VALU_DEP_4)
	v_div_fixup_f32 v3, v13, v5, v3
	v_lshlrev_b32_e32 v5, 2, v24
	v_add_nc_u32_e32 v13, 0xc0, v14
	v_div_fixup_f32 v7, v16, v10, v7
	v_min_u32_e32 v24, 0x1df, v0
	v_fma_f32 v4, -v3, v6, v4
	v_fma_f32 v6, -v3, v15, v8
	v_mul_f32_e64 v3, v3, -v23
	v_add_nc_u32_e32 v15, 64, v5
	v_mul_f32_e64 v5, v7, -v11
	v_fma_f32 v4, -v7, v9, v4
	v_fma_f32 v6, -v7, v12, v6
	ds_store_2addr_stride64_b32 v2, v3, v4 offset1:8
	ds_store_2addr_stride64_b32 v2, v5, v6 offset0:16 offset1:32
	s_waitcnt lgkmcnt(0)
	s_barrier
	buffer_gl0_inv
	ds_load_2addr_stride64_b32 v[3:4], v2 offset1:8
	ds_load_2addr_stride64_b32 v[5:6], v13 offset0:7 offset1:15
	ds_load_2addr_stride64_b32 v[7:8], v2 offset0:16 offset1:32
	ds_load_2addr_stride64_b32 v[9:10], v15 offset1:8
	v_subrev_nc_u32_e32 v23, 64, v14
	ds_load_b32 v14, v14 offset:8128
	s_waitcnt lgkmcnt(3)
	v_div_scale_f32 v13, null, v5, v5, v3
	s_waitcnt lgkmcnt(1)
	v_div_scale_f32 v16, null, v10, v10, v7
	v_div_scale_f32 v19, vcc_lo, v3, v5, v3
	s_delay_alu instid0(VALU_DEP_3) | instskip(NEXT) | instid1(VALU_DEP_2)
	v_rcp_f32_e32 v17, v13
	v_rcp_f32_e32 v18, v16
	v_div_scale_f32 v20, s3, v7, v10, v7
	s_waitcnt_depctr 0xfff
	v_fma_f32 v11, -v13, v17, 1.0
	v_fma_f32 v12, -v16, v18, 1.0
	s_delay_alu instid0(VALU_DEP_1) | instskip(NEXT) | instid1(VALU_DEP_1)
	v_dual_fmac_f32 v17, v11, v17 :: v_dual_fmac_f32 v18, v12, v18
	v_dual_mul_f32 v21, v19, v17 :: v_dual_mul_f32 v22, v20, v18
	s_delay_alu instid0(VALU_DEP_1) | instskip(NEXT) | instid1(VALU_DEP_2)
	v_fma_f32 v11, -v13, v21, v19
	v_fma_f32 v12, -v16, v22, v20
	s_delay_alu instid0(VALU_DEP_1)
	v_dual_fmac_f32 v21, v11, v17 :: v_dual_fmac_f32 v22, v12, v18
	ds_load_b32 v23, v23
	ds_load_2addr_stride64_b32 v[11:12], v15 offset0:16 offset1:32
	v_max_u32_e32 v15, 32, v0
	s_waitcnt lgkmcnt(0)
	v_fma_f32 v13, -v13, v21, v19
	v_fma_f32 v16, -v16, v22, v20
	s_barrier
	v_lshlrev_b32_e32 v15, 2, v15
	buffer_gl0_inv
	v_div_fmas_f32 v13, v13, v17, v21
	s_mov_b32 vcc_lo, s3
	v_div_fmas_f32 v16, v16, v18, v22
	s_delay_alu instid0(VALU_DEP_2) | instskip(SKIP_2) | instid1(VALU_DEP_4)
	v_div_fixup_f32 v3, v13, v5, v3
	v_lshlrev_b32_e32 v5, 2, v24
	v_add_nc_u32_e32 v13, 0x80, v15
	v_div_fixup_f32 v7, v16, v10, v7
	s_delay_alu instid0(VALU_DEP_4)
	v_fma_f32 v4, -v3, v6, v4
	v_fma_f32 v6, -v3, v14, v8
	v_mul_f32_e64 v3, v3, -v23
	v_add_nc_u32_e32 v14, 0x80, v5
	v_mul_f32_e64 v5, v7, -v11
	v_fma_f32 v4, -v7, v9, v4
	v_fma_f32 v6, -v7, v12, v6
	ds_store_2addr_stride64_b32 v2, v3, v4 offset1:8
	ds_store_2addr_stride64_b32 v2, v5, v6 offset0:16 offset1:32
	s_waitcnt lgkmcnt(0)
	s_barrier
	buffer_gl0_inv
	ds_load_2addr_stride64_b32 v[3:4], v2 offset1:8
	ds_load_2addr_stride64_b32 v[5:6], v13 offset0:7 offset1:15
	ds_load_2addr_stride64_b32 v[7:8], v2 offset0:16 offset1:32
	ds_load_2addr_stride64_b32 v[9:10], v14 offset1:8
	v_add_nc_u32_e32 v23, 0xffffff80, v15
	ds_load_b32 v15, v15 offset:8064
	s_waitcnt lgkmcnt(3)
	v_div_scale_f32 v13, null, v5, v5, v3
	s_waitcnt lgkmcnt(1)
	v_div_scale_f32 v16, null, v10, v10, v7
	v_div_scale_f32 v19, vcc_lo, v3, v5, v3
	s_delay_alu instid0(VALU_DEP_3) | instskip(NEXT) | instid1(VALU_DEP_2)
	v_rcp_f32_e32 v17, v13
	v_rcp_f32_e32 v18, v16
	v_div_scale_f32 v20, s3, v7, v10, v7
	s_waitcnt_depctr 0xfff
	v_fma_f32 v11, -v13, v17, 1.0
	v_fma_f32 v12, -v16, v18, 1.0
	s_delay_alu instid0(VALU_DEP_1) | instskip(NEXT) | instid1(VALU_DEP_1)
	v_dual_fmac_f32 v17, v11, v17 :: v_dual_fmac_f32 v18, v12, v18
	v_dual_mul_f32 v21, v19, v17 :: v_dual_mul_f32 v22, v20, v18
	s_delay_alu instid0(VALU_DEP_1) | instskip(NEXT) | instid1(VALU_DEP_2)
	v_fma_f32 v11, -v13, v21, v19
	v_fma_f32 v12, -v16, v22, v20
	s_delay_alu instid0(VALU_DEP_1)
	v_dual_fmac_f32 v21, v11, v17 :: v_dual_fmac_f32 v22, v12, v18
	ds_load_b32 v23, v23
	ds_load_2addr_stride64_b32 v[11:12], v14 offset0:16 offset1:32
	s_waitcnt lgkmcnt(0)
	s_barrier
	v_fma_f32 v13, -v13, v21, v19
	v_fma_f32 v14, -v16, v22, v20
	v_max_u32_e32 v16, 64, v0
	buffer_gl0_inv
	v_div_fmas_f32 v13, v13, v17, v21
	s_mov_b32 vcc_lo, s3
	v_div_fmas_f32 v14, v14, v18, v22
	s_delay_alu instid0(VALU_DEP_2) | instskip(SKIP_2) | instid1(VALU_DEP_4)
	v_div_fixup_f32 v3, v13, v5, v3
	v_min_u32_e32 v5, 0x1bf, v0
	v_lshlrev_b32_e32 v13, 2, v16
	v_div_fixup_f32 v7, v14, v10, v7
	s_delay_alu instid0(VALU_DEP_4)
	v_fma_f32 v4, -v3, v6, v4
	v_fma_f32 v6, -v3, v15, v8
	v_mul_f32_e64 v3, v3, -v23
	v_lshlrev_b32_e32 v14, 2, v5
	v_mul_f32_e64 v5, v7, -v11
	v_fma_f32 v4, -v7, v9, v4
	v_fma_f32 v6, -v7, v12, v6
	ds_store_2addr_stride64_b32 v2, v3, v4 offset1:8
	ds_store_2addr_stride64_b32 v2, v5, v6 offset0:16 offset1:32
	s_waitcnt lgkmcnt(0)
	s_barrier
	buffer_gl0_inv
	ds_load_2addr_stride64_b32 v[3:4], v2 offset1:8
	ds_load_2addr_stride64_b32 v[5:6], v13 offset0:7 offset1:15
	ds_load_2addr_stride64_b32 v[7:8], v2 offset0:16 offset1:32
	;; [unrolled: 1-line block ×3, first 2 shown]
	v_add_nc_u32_e32 v23, 0xffffff00, v13
	ds_load_b32 v13, v13 offset:7936
	s_waitcnt lgkmcnt(3)
	v_div_scale_f32 v15, null, v5, v5, v3
	s_waitcnt lgkmcnt(1)
	v_div_scale_f32 v16, null, v10, v10, v7
	v_div_scale_f32 v19, vcc_lo, v3, v5, v3
	s_delay_alu instid0(VALU_DEP_3) | instskip(NEXT) | instid1(VALU_DEP_2)
	v_rcp_f32_e32 v17, v15
	v_rcp_f32_e32 v18, v16
	v_div_scale_f32 v20, s3, v7, v10, v7
	s_waitcnt_depctr 0xfff
	v_fma_f32 v11, -v15, v17, 1.0
	v_fma_f32 v12, -v16, v18, 1.0
	s_delay_alu instid0(VALU_DEP_1) | instskip(NEXT) | instid1(VALU_DEP_1)
	v_dual_fmac_f32 v17, v11, v17 :: v_dual_fmac_f32 v18, v12, v18
	v_dual_mul_f32 v21, v19, v17 :: v_dual_mul_f32 v22, v20, v18
	s_delay_alu instid0(VALU_DEP_1) | instskip(NEXT) | instid1(VALU_DEP_2)
	v_fma_f32 v11, -v15, v21, v19
	v_fma_f32 v12, -v16, v22, v20
	s_delay_alu instid0(VALU_DEP_1)
	v_dual_fmac_f32 v21, v11, v17 :: v_dual_fmac_f32 v22, v12, v18
	ds_load_b32 v23, v23
	ds_load_2addr_stride64_b32 v[11:12], v14 offset0:17 offset1:33
	s_waitcnt lgkmcnt(0)
	s_barrier
	v_fma_f32 v14, -v15, v21, v19
	v_fma_f32 v15, -v16, v22, v20
	v_max_u32_e32 v16, 0x80, v0
	buffer_gl0_inv
	v_div_fmas_f32 v14, v14, v17, v21
	s_mov_b32 vcc_lo, s3
	v_div_fmas_f32 v15, v15, v18, v22
	s_delay_alu instid0(VALU_DEP_2) | instskip(SKIP_2) | instid1(VALU_DEP_4)
	v_div_fixup_f32 v3, v14, v5, v3
	v_min_u32_e32 v5, 0x17f, v0
	v_lshlrev_b32_e32 v14, 2, v16
	v_div_fixup_f32 v7, v15, v10, v7
	s_delay_alu instid0(VALU_DEP_4)
	v_fma_f32 v4, -v3, v6, v4
	v_fma_f32 v6, -v3, v13, v8
	v_mul_f32_e64 v3, v3, -v23
	v_lshlrev_b32_e32 v13, 2, v5
	v_mul_f32_e64 v5, v7, -v11
	v_fma_f32 v4, -v7, v9, v4
	v_fma_f32 v6, -v7, v12, v6
	ds_store_2addr_stride64_b32 v2, v3, v4 offset1:8
	ds_store_2addr_stride64_b32 v2, v5, v6 offset0:16 offset1:32
	s_waitcnt lgkmcnt(0)
	s_barrier
	buffer_gl0_inv
	ds_load_2addr_stride64_b32 v[3:4], v2 offset1:8
	ds_load_2addr_stride64_b32 v[5:6], v14 offset0:6 offset1:14
	ds_load_2addr_stride64_b32 v[7:8], v2 offset0:16 offset1:32
	;; [unrolled: 1-line block ×3, first 2 shown]
	v_add_nc_u32_e32 v23, 0xfffffe00, v14
	ds_load_b32 v14, v14 offset:7680
	s_waitcnt lgkmcnt(3)
	v_div_scale_f32 v15, null, v5, v5, v3
	s_waitcnt lgkmcnt(1)
	v_div_scale_f32 v16, null, v10, v10, v7
	v_div_scale_f32 v19, vcc_lo, v3, v5, v3
	s_delay_alu instid0(VALU_DEP_3) | instskip(NEXT) | instid1(VALU_DEP_2)
	v_rcp_f32_e32 v17, v15
	v_rcp_f32_e32 v18, v16
	v_div_scale_f32 v20, s3, v7, v10, v7
	s_waitcnt_depctr 0xfff
	v_fma_f32 v11, -v15, v17, 1.0
	v_fma_f32 v12, -v16, v18, 1.0
	s_delay_alu instid0(VALU_DEP_1) | instskip(NEXT) | instid1(VALU_DEP_1)
	v_dual_fmac_f32 v17, v11, v17 :: v_dual_fmac_f32 v18, v12, v18
	v_dual_mul_f32 v21, v19, v17 :: v_dual_mul_f32 v22, v20, v18
	s_delay_alu instid0(VALU_DEP_1) | instskip(NEXT) | instid1(VALU_DEP_2)
	v_fma_f32 v11, -v15, v21, v19
	v_fma_f32 v12, -v16, v22, v20
	s_delay_alu instid0(VALU_DEP_1)
	v_dual_fmac_f32 v21, v11, v17 :: v_dual_fmac_f32 v22, v12, v18
	ds_load_b32 v23, v23
	ds_load_2addr_stride64_b32 v[11:12], v13 offset0:18 offset1:34
	s_waitcnt lgkmcnt(0)
	s_barrier
	v_fma_f32 v13, -v15, v21, v19
	v_fma_f32 v15, -v16, v22, v20
	buffer_gl0_inv
	v_div_fmas_f32 v13, v13, v17, v21
	s_mov_b32 vcc_lo, s3
	v_div_fmas_f32 v15, v15, v18, v22
	v_cmp_gt_u32_e32 vcc_lo, 0x100, v0
	s_delay_alu instid0(VALU_DEP_3) | instskip(NEXT) | instid1(VALU_DEP_3)
	v_div_fixup_f32 v3, v13, v5, v3
	v_div_fixup_f32 v5, v15, v10, v7
	s_delay_alu instid0(VALU_DEP_2) | instskip(SKIP_2) | instid1(VALU_DEP_4)
	v_fma_f32 v4, -v3, v6, v4
	v_fma_f32 v6, -v3, v14, v8
	v_mul_f32_e64 v0, v3, -v23
	v_mul_f32_e64 v3, v5, -v11
	s_delay_alu instid0(VALU_DEP_4) | instskip(NEXT) | instid1(VALU_DEP_4)
	v_fma_f32 v4, -v5, v9, v4
	v_fma_f32 v5, -v5, v12, v6
	ds_store_2addr_stride64_b32 v2, v0, v4 offset1:8
	ds_store_2addr_stride64_b32 v2, v3, v5 offset0:16 offset1:32
	s_waitcnt lgkmcnt(0)
	s_barrier
	buffer_gl0_inv
	s_and_saveexec_b32 s3, vcc_lo
	s_cbranch_execz .LBB20_2
; %bb.1:
	v_or_b32_e32 v0, 0x1000, v2
	v_or_b32_e32 v3, 0x800, v2
	;; [unrolled: 1-line block ×3, first 2 shown]
	ds_load_b32 v0, v0
	ds_load_b32 v7, v2 offset:1024
	ds_load_2addr_stride64_b32 v[3:4], v3 offset1:4
	s_waitcnt lgkmcnt(1)
	v_mul_f32_e32 v5, v0, v7
	s_waitcnt lgkmcnt(0)
	s_delay_alu instid0(VALU_DEP_1) | instskip(NEXT) | instid1(VALU_DEP_1)
	v_fma_f32 v8, v4, v3, -v5
	v_div_scale_f32 v9, null, v8, v8, 1.0
	v_div_scale_f32 v11, vcc_lo, 1.0, v8, 1.0
	s_delay_alu instid0(VALU_DEP_2) | instskip(SKIP_2) | instid1(VALU_DEP_1)
	v_rcp_f32_e32 v10, v9
	s_waitcnt_depctr 0xfff
	v_fma_f32 v5, -v9, v10, 1.0
	v_fmac_f32_e32 v10, v5, v10
	ds_load_2addr_stride64_b32 v[5:6], v6 offset1:4
	s_waitcnt lgkmcnt(0)
	v_mul_f32_e32 v7, v7, v5
	v_mul_f32_e32 v12, v11, v10
	;; [unrolled: 1-line block ×3, first 2 shown]
	s_delay_alu instid0(VALU_DEP_3) | instskip(NEXT) | instid1(VALU_DEP_3)
	v_fma_f32 v3, v3, v6, -v7
	v_fma_f32 v13, -v9, v12, v11
	s_delay_alu instid0(VALU_DEP_3) | instskip(NEXT) | instid1(VALU_DEP_2)
	v_fma_f32 v0, v4, v5, -v0
	v_fmac_f32_e32 v12, v13, v10
	s_delay_alu instid0(VALU_DEP_1) | instskip(NEXT) | instid1(VALU_DEP_1)
	v_fma_f32 v9, -v9, v12, v11
	v_div_fmas_f32 v9, v9, v10, v12
	s_delay_alu instid0(VALU_DEP_1) | instskip(NEXT) | instid1(VALU_DEP_1)
	v_div_fixup_f32 v4, v9, v8, 1.0
	v_mul_f32_e32 v3, v4, v3
	v_mul_f32_e32 v0, v4, v0
	ds_store_2addr_stride64_b32 v2, v0, v3 offset0:24 offset1:28
.LBB20_2:
	s_or_b32 exec_lo, exec_lo, s3
	s_waitcnt lgkmcnt(0)
	s_barrier
	buffer_gl0_inv
	s_and_saveexec_b32 s3, s2
	s_cbranch_execz .LBB20_4
; %bb.3:
	s_clause 0x1
	s_load_b32 s2, s[0:1], 0x8
	s_load_b64 s[0:1], s[0:1], 0x30
	s_waitcnt lgkmcnt(0)
	v_mad_u64_u32 v[3:4], null, s15, s2, v[1:2]
	ds_load_b32 v2, v2 offset:6144
	v_mov_b32_e32 v4, 0
	s_delay_alu instid0(VALU_DEP_1) | instskip(NEXT) | instid1(VALU_DEP_1)
	v_lshlrev_b64 v[0:1], 2, v[3:4]
	v_add_co_u32 v0, vcc_lo, s0, v0
	s_delay_alu instid0(VALU_DEP_2)
	v_add_co_ci_u32_e32 v1, vcc_lo, s1, v1, vcc_lo
	s_waitcnt lgkmcnt(0)
	global_store_b32 v[0:1], v2, off
.LBB20_4:
	s_nop 0
	s_sendmsg sendmsg(MSG_DEALLOC_VGPRS)
	s_endpgm
	.section	.rodata,"a",@progbits
	.p2align	6, 0x0
	.amdhsa_kernel _ZN9rocsparseL44gtsv_nopivot_strided_batch_pcr_stage2_kernelILj512EfEEviiiPKT0_S3_S3_S3_PS1_
		.amdhsa_group_segment_fixed_size 10240
		.amdhsa_private_segment_fixed_size 0
		.amdhsa_kernarg_size 312
		.amdhsa_user_sgpr_count 14
		.amdhsa_user_sgpr_dispatch_ptr 0
		.amdhsa_user_sgpr_queue_ptr 0
		.amdhsa_user_sgpr_kernarg_segment_ptr 1
		.amdhsa_user_sgpr_dispatch_id 0
		.amdhsa_user_sgpr_private_segment_size 0
		.amdhsa_wavefront_size32 1
		.amdhsa_uses_dynamic_stack 0
		.amdhsa_enable_private_segment 0
		.amdhsa_system_sgpr_workgroup_id_x 1
		.amdhsa_system_sgpr_workgroup_id_y 1
		.amdhsa_system_sgpr_workgroup_id_z 0
		.amdhsa_system_sgpr_workgroup_info 0
		.amdhsa_system_vgpr_workitem_id 0
		.amdhsa_next_free_vgpr 25
		.amdhsa_next_free_sgpr 16
		.amdhsa_reserve_vcc 1
		.amdhsa_float_round_mode_32 0
		.amdhsa_float_round_mode_16_64 0
		.amdhsa_float_denorm_mode_32 3
		.amdhsa_float_denorm_mode_16_64 3
		.amdhsa_dx10_clamp 1
		.amdhsa_ieee_mode 1
		.amdhsa_fp16_overflow 0
		.amdhsa_workgroup_processor_mode 1
		.amdhsa_memory_ordered 1
		.amdhsa_forward_progress 0
		.amdhsa_shared_vgpr_count 0
		.amdhsa_exception_fp_ieee_invalid_op 0
		.amdhsa_exception_fp_denorm_src 0
		.amdhsa_exception_fp_ieee_div_zero 0
		.amdhsa_exception_fp_ieee_overflow 0
		.amdhsa_exception_fp_ieee_underflow 0
		.amdhsa_exception_fp_ieee_inexact 0
		.amdhsa_exception_int_div_zero 0
	.end_amdhsa_kernel
	.section	.text._ZN9rocsparseL44gtsv_nopivot_strided_batch_pcr_stage2_kernelILj512EfEEviiiPKT0_S3_S3_S3_PS1_,"axG",@progbits,_ZN9rocsparseL44gtsv_nopivot_strided_batch_pcr_stage2_kernelILj512EfEEviiiPKT0_S3_S3_S3_PS1_,comdat
.Lfunc_end20:
	.size	_ZN9rocsparseL44gtsv_nopivot_strided_batch_pcr_stage2_kernelILj512EfEEviiiPKT0_S3_S3_S3_PS1_, .Lfunc_end20-_ZN9rocsparseL44gtsv_nopivot_strided_batch_pcr_stage2_kernelILj512EfEEviiiPKT0_S3_S3_S3_PS1_
                                        ; -- End function
	.section	.AMDGPU.csdata,"",@progbits
; Kernel info:
; codeLenInByte = 3540
; NumSgprs: 18
; NumVgprs: 25
; ScratchSize: 0
; MemoryBound: 0
; FloatMode: 240
; IeeeMode: 1
; LDSByteSize: 10240 bytes/workgroup (compile time only)
; SGPRBlocks: 2
; VGPRBlocks: 3
; NumSGPRsForWavesPerEU: 18
; NumVGPRsForWavesPerEU: 25
; Occupancy: 16
; WaveLimiterHint : 0
; COMPUTE_PGM_RSRC2:SCRATCH_EN: 0
; COMPUTE_PGM_RSRC2:USER_SGPR: 14
; COMPUTE_PGM_RSRC2:TRAP_HANDLER: 0
; COMPUTE_PGM_RSRC2:TGID_X_EN: 1
; COMPUTE_PGM_RSRC2:TGID_Y_EN: 1
; COMPUTE_PGM_RSRC2:TGID_Z_EN: 0
; COMPUTE_PGM_RSRC2:TIDIG_COMP_CNT: 0
	.section	.text._ZN9rocsparseL49gtsv_nopivot_strided_batch_pcr_pow2_shared_kernelILj2EdEEviiiPKT0_S3_S3_PS1_,"axG",@progbits,_ZN9rocsparseL49gtsv_nopivot_strided_batch_pcr_pow2_shared_kernelILj2EdEEviiiPKT0_S3_S3_PS1_,comdat
	.globl	_ZN9rocsparseL49gtsv_nopivot_strided_batch_pcr_pow2_shared_kernelILj2EdEEviiiPKT0_S3_S3_PS1_ ; -- Begin function _ZN9rocsparseL49gtsv_nopivot_strided_batch_pcr_pow2_shared_kernelILj2EdEEviiiPKT0_S3_S3_PS1_
	.p2align	8
	.type	_ZN9rocsparseL49gtsv_nopivot_strided_batch_pcr_pow2_shared_kernelILj2EdEEviiiPKT0_S3_S3_PS1_,@function
_ZN9rocsparseL49gtsv_nopivot_strided_batch_pcr_pow2_shared_kernelILj2EdEEviiiPKT0_S3_S3_PS1_: ; @_ZN9rocsparseL49gtsv_nopivot_strided_batch_pcr_pow2_shared_kernelILj2EdEEviiiPKT0_S3_S3_PS1_
; %bb.0:
	s_clause 0x1
	s_load_b32 s8, s[0:1], 0x8
	s_load_b256 s[0:7], s[0:1], 0x10
	s_waitcnt lgkmcnt(0)
	v_mad_u64_u32 v[1:2], null, s15, s8, v[0:1]
	s_delay_alu instid0(VALU_DEP_1) | instskip(NEXT) | instid1(VALU_DEP_1)
	v_ashrrev_i32_e32 v2, 31, v1
	v_lshlrev_b64 v[1:2], 3, v[1:2]
	s_delay_alu instid0(VALU_DEP_1) | instskip(NEXT) | instid1(VALU_DEP_2)
	v_add_co_u32 v3, vcc_lo, s0, v1
	v_add_co_ci_u32_e32 v4, vcc_lo, s1, v2, vcc_lo
	v_add_co_u32 v5, vcc_lo, s2, v1
	v_add_co_ci_u32_e32 v6, vcc_lo, s3, v2, vcc_lo
	;; [unrolled: 2-line block ×4, first 2 shown]
	global_load_b64 v[9:10], v[3:4], off
	global_load_b64 v[4:5], v[5:6], off
	;; [unrolled: 1-line block ×4, first 2 shown]
	v_lshlrev_b32_e32 v3, 3, v0
	s_mov_b32 s0, exec_lo
	s_waitcnt vmcnt(2)
	ds_store_2addr_b64 v3, v[9:10], v[4:5] offset1:4
	s_waitcnt vmcnt(0)
	ds_store_2addr_b64 v3, v[6:7], v[11:12] offset0:8 offset1:16
	s_waitcnt vmcnt(0) lgkmcnt(0)
	s_waitcnt_vscnt null, 0x0
	; wave barrier
	s_waitcnt lgkmcnt(0)
	buffer_gl0_inv
	v_cmpx_eq_u32_e32 0, v0
	s_cbranch_execz .LBB21_2
; %bb.1:
	v_mov_b32_e32 v0, 0
	v_or_b32_e32 v8, 64, v3
	v_or_b32_e32 v10, 0x80, v3
	;; [unrolled: 1-line block ×3, first 2 shown]
	ds_load_2addr_b64 v[4:7], v0 offset0:1 offset1:5
	ds_load_b64 v[8:9], v8
	ds_load_b64 v[10:11], v10
	ds_load_b64 v[12:13], v0 offset:136
	ds_load_b64 v[16:17], v16
	s_waitcnt lgkmcnt(3)
	v_mul_f64 v[14:15], v[8:9], v[4:5]
	s_waitcnt lgkmcnt(2)
	v_mul_f64 v[4:5], v[4:5], v[10:11]
	;; [unrolled: 2-line block ×3, first 2 shown]
	s_waitcnt lgkmcnt(0)
	s_delay_alu instid0(VALU_DEP_3) | instskip(NEXT) | instid1(VALU_DEP_2)
	v_fma_f64 v[14:15], v[6:7], v[16:17], -v[14:15]
	v_fma_f64 v[6:7], v[6:7], v[10:11], -v[8:9]
	s_delay_alu instid0(VALU_DEP_4) | instskip(NEXT) | instid1(VALU_DEP_3)
	v_fma_f64 v[10:11], v[16:17], v[12:13], -v[4:5]
	v_div_scale_f64 v[18:19], null, v[14:15], v[14:15], 1.0
	v_div_scale_f64 v[24:25], vcc_lo, 1.0, v[14:15], 1.0
	s_delay_alu instid0(VALU_DEP_2) | instskip(SKIP_2) | instid1(VALU_DEP_1)
	v_rcp_f64_e32 v[20:21], v[18:19]
	s_waitcnt_depctr 0xfff
	v_fma_f64 v[22:23], -v[18:19], v[20:21], 1.0
	v_fma_f64 v[20:21], v[20:21], v[22:23], v[20:21]
	s_delay_alu instid0(VALU_DEP_1) | instskip(NEXT) | instid1(VALU_DEP_1)
	v_fma_f64 v[22:23], -v[18:19], v[20:21], 1.0
	v_fma_f64 v[20:21], v[20:21], v[22:23], v[20:21]
	s_delay_alu instid0(VALU_DEP_1) | instskip(NEXT) | instid1(VALU_DEP_1)
	v_mul_f64 v[22:23], v[24:25], v[20:21]
	v_fma_f64 v[18:19], -v[18:19], v[22:23], v[24:25]
	s_delay_alu instid0(VALU_DEP_1) | instskip(NEXT) | instid1(VALU_DEP_1)
	v_div_fmas_f64 v[18:19], v[18:19], v[20:21], v[22:23]
	v_div_fixup_f64 v[8:9], v[18:19], v[14:15], 1.0
	s_delay_alu instid0(VALU_DEP_1)
	v_mul_f64 v[4:5], v[8:9], v[6:7]
	v_mul_f64 v[6:7], v[8:9], v[10:11]
	ds_store_b128 v0, v[4:7] offset:96
.LBB21_2:
	s_or_b32 exec_lo, exec_lo, s0
	s_waitcnt vmcnt(0) lgkmcnt(0)
	s_waitcnt_vscnt null, 0x0
	; wave barrier
	s_waitcnt lgkmcnt(0)
	buffer_gl0_inv
	ds_load_b64 v[3:4], v3 offset:96
	s_waitcnt lgkmcnt(0)
	global_store_b64 v[1:2], v[3:4], off
	s_nop 0
	s_sendmsg sendmsg(MSG_DEALLOC_VGPRS)
	s_endpgm
	.section	.rodata,"a",@progbits
	.p2align	6, 0x0
	.amdhsa_kernel _ZN9rocsparseL49gtsv_nopivot_strided_batch_pcr_pow2_shared_kernelILj2EdEEviiiPKT0_S3_S3_PS1_
		.amdhsa_group_segment_fixed_size 152
		.amdhsa_private_segment_fixed_size 0
		.amdhsa_kernarg_size 48
		.amdhsa_user_sgpr_count 15
		.amdhsa_user_sgpr_dispatch_ptr 0
		.amdhsa_user_sgpr_queue_ptr 0
		.amdhsa_user_sgpr_kernarg_segment_ptr 1
		.amdhsa_user_sgpr_dispatch_id 0
		.amdhsa_user_sgpr_private_segment_size 0
		.amdhsa_wavefront_size32 1
		.amdhsa_uses_dynamic_stack 0
		.amdhsa_enable_private_segment 0
		.amdhsa_system_sgpr_workgroup_id_x 1
		.amdhsa_system_sgpr_workgroup_id_y 0
		.amdhsa_system_sgpr_workgroup_id_z 0
		.amdhsa_system_sgpr_workgroup_info 0
		.amdhsa_system_vgpr_workitem_id 0
		.amdhsa_next_free_vgpr 26
		.amdhsa_next_free_sgpr 16
		.amdhsa_reserve_vcc 1
		.amdhsa_float_round_mode_32 0
		.amdhsa_float_round_mode_16_64 0
		.amdhsa_float_denorm_mode_32 3
		.amdhsa_float_denorm_mode_16_64 3
		.amdhsa_dx10_clamp 1
		.amdhsa_ieee_mode 1
		.amdhsa_fp16_overflow 0
		.amdhsa_workgroup_processor_mode 1
		.amdhsa_memory_ordered 1
		.amdhsa_forward_progress 0
		.amdhsa_shared_vgpr_count 0
		.amdhsa_exception_fp_ieee_invalid_op 0
		.amdhsa_exception_fp_denorm_src 0
		.amdhsa_exception_fp_ieee_div_zero 0
		.amdhsa_exception_fp_ieee_overflow 0
		.amdhsa_exception_fp_ieee_underflow 0
		.amdhsa_exception_fp_ieee_inexact 0
		.amdhsa_exception_int_div_zero 0
	.end_amdhsa_kernel
	.section	.text._ZN9rocsparseL49gtsv_nopivot_strided_batch_pcr_pow2_shared_kernelILj2EdEEviiiPKT0_S3_S3_PS1_,"axG",@progbits,_ZN9rocsparseL49gtsv_nopivot_strided_batch_pcr_pow2_shared_kernelILj2EdEEviiiPKT0_S3_S3_PS1_,comdat
.Lfunc_end21:
	.size	_ZN9rocsparseL49gtsv_nopivot_strided_batch_pcr_pow2_shared_kernelILj2EdEEviiiPKT0_S3_S3_PS1_, .Lfunc_end21-_ZN9rocsparseL49gtsv_nopivot_strided_batch_pcr_pow2_shared_kernelILj2EdEEviiiPKT0_S3_S3_PS1_
                                        ; -- End function
	.section	.AMDGPU.csdata,"",@progbits
; Kernel info:
; codeLenInByte = 512
; NumSgprs: 18
; NumVgprs: 26
; ScratchSize: 0
; MemoryBound: 1
; FloatMode: 240
; IeeeMode: 1
; LDSByteSize: 152 bytes/workgroup (compile time only)
; SGPRBlocks: 2
; VGPRBlocks: 3
; NumSGPRsForWavesPerEU: 18
; NumVGPRsForWavesPerEU: 26
; Occupancy: 16
; WaveLimiterHint : 1
; COMPUTE_PGM_RSRC2:SCRATCH_EN: 0
; COMPUTE_PGM_RSRC2:USER_SGPR: 15
; COMPUTE_PGM_RSRC2:TRAP_HANDLER: 0
; COMPUTE_PGM_RSRC2:TGID_X_EN: 1
; COMPUTE_PGM_RSRC2:TGID_Y_EN: 0
; COMPUTE_PGM_RSRC2:TGID_Z_EN: 0
; COMPUTE_PGM_RSRC2:TIDIG_COMP_CNT: 0
	.section	.text._ZN9rocsparseL49gtsv_nopivot_strided_batch_pcr_pow2_shared_kernelILj4EdEEviiiPKT0_S3_S3_PS1_,"axG",@progbits,_ZN9rocsparseL49gtsv_nopivot_strided_batch_pcr_pow2_shared_kernelILj4EdEEviiiPKT0_S3_S3_PS1_,comdat
	.globl	_ZN9rocsparseL49gtsv_nopivot_strided_batch_pcr_pow2_shared_kernelILj4EdEEviiiPKT0_S3_S3_PS1_ ; -- Begin function _ZN9rocsparseL49gtsv_nopivot_strided_batch_pcr_pow2_shared_kernelILj4EdEEviiiPKT0_S3_S3_PS1_
	.p2align	8
	.type	_ZN9rocsparseL49gtsv_nopivot_strided_batch_pcr_pow2_shared_kernelILj4EdEEviiiPKT0_S3_S3_PS1_,@function
_ZN9rocsparseL49gtsv_nopivot_strided_batch_pcr_pow2_shared_kernelILj4EdEEviiiPKT0_S3_S3_PS1_: ; @_ZN9rocsparseL49gtsv_nopivot_strided_batch_pcr_pow2_shared_kernelILj4EdEEviiiPKT0_S3_S3_PS1_
; %bb.0:
	s_clause 0x1
	s_load_b32 s8, s[0:1], 0x8
	s_load_b256 s[0:7], s[0:1], 0x10
	s_waitcnt lgkmcnt(0)
	v_mad_u64_u32 v[1:2], null, s15, s8, v[0:1]
	s_delay_alu instid0(VALU_DEP_1) | instskip(NEXT) | instid1(VALU_DEP_1)
	v_ashrrev_i32_e32 v2, 31, v1
	v_lshlrev_b64 v[1:2], 3, v[1:2]
	s_delay_alu instid0(VALU_DEP_1) | instskip(NEXT) | instid1(VALU_DEP_2)
	v_add_co_u32 v3, vcc_lo, s0, v1
	v_add_co_ci_u32_e32 v4, vcc_lo, s1, v2, vcc_lo
	v_add_co_u32 v5, vcc_lo, s2, v1
	v_add_co_ci_u32_e32 v6, vcc_lo, s3, v2, vcc_lo
	;; [unrolled: 2-line block ×4, first 2 shown]
	global_load_b64 v[9:10], v[3:4], off
	global_load_b64 v[4:5], v[5:6], off
	;; [unrolled: 1-line block ×4, first 2 shown]
	v_max_u32_e32 v8, 1, v0
	v_lshlrev_b32_e32 v3, 3, v0
	s_waitcnt vmcnt(2)
	ds_store_2addr_b64 v3, v[9:10], v[4:5] offset1:6
	s_waitcnt vmcnt(0)
	ds_store_2addr_b64 v3, v[6:7], v[11:12] offset0:12 offset1:24
	v_lshlrev_b32_e32 v36, 3, v8
	s_waitcnt vmcnt(0) lgkmcnt(0)
	s_waitcnt_vscnt null, 0x0
	; wave barrier
	s_waitcnt lgkmcnt(0)
	buffer_gl0_inv
	ds_load_2addr_b64 v[4:7], v3 offset1:6
	ds_load_2addr_b64 v[8:11], v36 offset0:5 offset1:11
	v_min_u32_e32 v12, 2, v0
	s_delay_alu instid0(VALU_DEP_1)
	v_lshlrev_b32_e32 v37, 3, v12
	ds_load_2addr_b64 v[12:15], v3 offset0:12 offset1:24
	ds_load_2addr_b64 v[16:19], v37 offset0:1 offset1:7
	s_waitcnt lgkmcnt(2)
	v_div_scale_f64 v[20:21], null, v[8:9], v[8:9], v[4:5]
	v_div_scale_f64 v[32:33], vcc_lo, v[4:5], v[8:9], v[4:5]
	s_waitcnt lgkmcnt(0)
	v_div_scale_f64 v[22:23], null, v[18:19], v[18:19], v[12:13]
	s_delay_alu instid0(VALU_DEP_3) | instskip(NEXT) | instid1(VALU_DEP_1)
	v_rcp_f64_e32 v[24:25], v[20:21]
	v_rcp_f64_e32 v[26:27], v[22:23]
	s_waitcnt_depctr 0xfff
	v_fma_f64 v[28:29], -v[20:21], v[24:25], 1.0
	v_fma_f64 v[30:31], -v[22:23], v[26:27], 1.0
	s_delay_alu instid0(VALU_DEP_2) | instskip(NEXT) | instid1(VALU_DEP_2)
	v_fma_f64 v[24:25], v[24:25], v[28:29], v[24:25]
	v_fma_f64 v[26:27], v[26:27], v[30:31], v[26:27]
	s_delay_alu instid0(VALU_DEP_2) | instskip(NEXT) | instid1(VALU_DEP_2)
	v_fma_f64 v[28:29], -v[20:21], v[24:25], 1.0
	v_fma_f64 v[30:31], -v[22:23], v[26:27], 1.0
	s_delay_alu instid0(VALU_DEP_2) | instskip(SKIP_1) | instid1(VALU_DEP_3)
	v_fma_f64 v[24:25], v[24:25], v[28:29], v[24:25]
	v_div_scale_f64 v[28:29], s0, v[12:13], v[18:19], v[12:13]
	v_fma_f64 v[26:27], v[26:27], v[30:31], v[26:27]
	s_delay_alu instid0(VALU_DEP_3) | instskip(NEXT) | instid1(VALU_DEP_2)
	v_mul_f64 v[30:31], v[32:33], v[24:25]
	v_mul_f64 v[34:35], v[28:29], v[26:27]
	s_delay_alu instid0(VALU_DEP_2) | instskip(NEXT) | instid1(VALU_DEP_2)
	v_fma_f64 v[20:21], -v[20:21], v[30:31], v[32:33]
	v_fma_f64 v[22:23], -v[22:23], v[34:35], v[28:29]
	s_delay_alu instid0(VALU_DEP_2) | instskip(SKIP_2) | instid1(VALU_DEP_2)
	v_div_fmas_f64 v[20:21], v[20:21], v[24:25], v[30:31]
	s_mov_b32 vcc_lo, s0
	s_mov_b32 s0, exec_lo
	v_div_fmas_f64 v[22:23], v[22:23], v[26:27], v[34:35]
	s_delay_alu instid0(VALU_DEP_2)
	v_div_fixup_f64 v[8:9], v[20:21], v[8:9], v[4:5]
	ds_load_b64 v[4:5], v36 offset:184
	v_add_nc_u32_e32 v20, -8, v36
	ds_load_b64 v[20:21], v20
	v_div_fixup_f64 v[12:13], v[22:23], v[18:19], v[12:13]
	v_fma_f64 v[10:11], -v[8:9], v[10:11], v[6:7]
	s_waitcnt lgkmcnt(1)
	v_fma_f64 v[14:15], -v[8:9], v[4:5], v[14:15]
	ds_load_2addr_b64 v[4:7], v37 offset0:13 offset1:25
	s_waitcnt lgkmcnt(1)
	v_mul_f64 v[8:9], v[8:9], -v[20:21]
	s_waitcnt vmcnt(0) lgkmcnt(0)
	s_waitcnt_vscnt null, 0x0
	; wave barrier
	s_waitcnt lgkmcnt(0)
	buffer_gl0_inv
	v_mul_f64 v[4:5], v[12:13], -v[4:5]
	v_fma_f64 v[10:11], -v[12:13], v[16:17], v[10:11]
	v_fma_f64 v[6:7], -v[12:13], v[6:7], v[14:15]
	ds_store_2addr_b64 v3, v[8:9], v[10:11] offset1:6
	ds_store_2addr_b64 v3, v[4:5], v[6:7] offset0:12 offset1:24
	s_waitcnt vmcnt(0) lgkmcnt(0)
	s_waitcnt_vscnt null, 0x0
	; wave barrier
	s_waitcnt lgkmcnt(0)
	buffer_gl0_inv
	v_cmpx_gt_u32_e32 2, v0
	s_cbranch_execz .LBB22_2
; %bb.1:
	v_or_b32_e32 v0, 0x60, v3
	ds_load_b64 v[12:13], v0
	ds_load_b64 v[14:15], v3 offset:16
	v_add_nc_u32_e32 v0, 48, v3
	ds_load_2addr_b64 v[4:7], v0 offset1:2
	v_or_b32_e32 v0, 0xc0, v3
	s_waitcnt lgkmcnt(1)
	v_mul_f64 v[8:9], v[12:13], v[14:15]
	s_waitcnt lgkmcnt(0)
	s_delay_alu instid0(VALU_DEP_1) | instskip(NEXT) | instid1(VALU_DEP_1)
	v_fma_f64 v[16:17], v[6:7], v[4:5], -v[8:9]
	v_div_scale_f64 v[8:9], null, v[16:17], v[16:17], 1.0
	v_div_scale_f64 v[20:21], vcc_lo, 1.0, v[16:17], 1.0
	s_delay_alu instid0(VALU_DEP_2) | instskip(SKIP_2) | instid1(VALU_DEP_1)
	v_rcp_f64_e32 v[10:11], v[8:9]
	s_waitcnt_depctr 0xfff
	v_fma_f64 v[18:19], -v[8:9], v[10:11], 1.0
	v_fma_f64 v[10:11], v[10:11], v[18:19], v[10:11]
	s_delay_alu instid0(VALU_DEP_1) | instskip(NEXT) | instid1(VALU_DEP_1)
	v_fma_f64 v[18:19], -v[8:9], v[10:11], 1.0
	v_fma_f64 v[18:19], v[10:11], v[18:19], v[10:11]
	s_delay_alu instid0(VALU_DEP_1) | instskip(NEXT) | instid1(VALU_DEP_1)
	v_mul_f64 v[22:23], v[20:21], v[18:19]
	v_fma_f64 v[20:21], -v[8:9], v[22:23], v[20:21]
	ds_load_2addr_b64 v[8:11], v0 offset1:2
	s_waitcnt lgkmcnt(0)
	v_mul_f64 v[12:13], v[12:13], v[10:11]
	v_mul_f64 v[14:15], v[14:15], v[8:9]
	v_div_fmas_f64 v[18:19], v[20:21], v[18:19], v[22:23]
	s_delay_alu instid0(VALU_DEP_3) | instskip(NEXT) | instid1(VALU_DEP_3)
	v_fma_f64 v[6:7], v[6:7], v[8:9], -v[12:13]
	v_fma_f64 v[4:5], v[4:5], v[10:11], -v[14:15]
	s_delay_alu instid0(VALU_DEP_3) | instskip(NEXT) | instid1(VALU_DEP_1)
	v_div_fixup_f64 v[8:9], v[18:19], v[16:17], 1.0
	v_mul_f64 v[6:7], v[8:9], v[6:7]
	s_delay_alu instid0(VALU_DEP_3)
	v_mul_f64 v[4:5], v[8:9], v[4:5]
	ds_store_2addr_b64 v3, v[6:7], v[4:5] offset0:18 offset1:20
.LBB22_2:
	s_or_b32 exec_lo, exec_lo, s0
	s_waitcnt vmcnt(0) lgkmcnt(0)
	s_waitcnt_vscnt null, 0x0
	; wave barrier
	s_waitcnt lgkmcnt(0)
	buffer_gl0_inv
	ds_load_b64 v[3:4], v3 offset:144
	s_waitcnt lgkmcnt(0)
	global_store_b64 v[1:2], v[3:4], off
	s_nop 0
	s_sendmsg sendmsg(MSG_DEALLOC_VGPRS)
	s_endpgm
	.section	.rodata,"a",@progbits
	.p2align	6, 0x0
	.amdhsa_kernel _ZN9rocsparseL49gtsv_nopivot_strided_batch_pcr_pow2_shared_kernelILj4EdEEviiiPKT0_S3_S3_PS1_
		.amdhsa_group_segment_fixed_size 232
		.amdhsa_private_segment_fixed_size 0
		.amdhsa_kernarg_size 48
		.amdhsa_user_sgpr_count 15
		.amdhsa_user_sgpr_dispatch_ptr 0
		.amdhsa_user_sgpr_queue_ptr 0
		.amdhsa_user_sgpr_kernarg_segment_ptr 1
		.amdhsa_user_sgpr_dispatch_id 0
		.amdhsa_user_sgpr_private_segment_size 0
		.amdhsa_wavefront_size32 1
		.amdhsa_uses_dynamic_stack 0
		.amdhsa_enable_private_segment 0
		.amdhsa_system_sgpr_workgroup_id_x 1
		.amdhsa_system_sgpr_workgroup_id_y 0
		.amdhsa_system_sgpr_workgroup_id_z 0
		.amdhsa_system_sgpr_workgroup_info 0
		.amdhsa_system_vgpr_workitem_id 0
		.amdhsa_next_free_vgpr 38
		.amdhsa_next_free_sgpr 16
		.amdhsa_reserve_vcc 1
		.amdhsa_float_round_mode_32 0
		.amdhsa_float_round_mode_16_64 0
		.amdhsa_float_denorm_mode_32 3
		.amdhsa_float_denorm_mode_16_64 3
		.amdhsa_dx10_clamp 1
		.amdhsa_ieee_mode 1
		.amdhsa_fp16_overflow 0
		.amdhsa_workgroup_processor_mode 1
		.amdhsa_memory_ordered 1
		.amdhsa_forward_progress 0
		.amdhsa_shared_vgpr_count 0
		.amdhsa_exception_fp_ieee_invalid_op 0
		.amdhsa_exception_fp_denorm_src 0
		.amdhsa_exception_fp_ieee_div_zero 0
		.amdhsa_exception_fp_ieee_overflow 0
		.amdhsa_exception_fp_ieee_underflow 0
		.amdhsa_exception_fp_ieee_inexact 0
		.amdhsa_exception_int_div_zero 0
	.end_amdhsa_kernel
	.section	.text._ZN9rocsparseL49gtsv_nopivot_strided_batch_pcr_pow2_shared_kernelILj4EdEEviiiPKT0_S3_S3_PS1_,"axG",@progbits,_ZN9rocsparseL49gtsv_nopivot_strided_batch_pcr_pow2_shared_kernelILj4EdEEviiiPKT0_S3_S3_PS1_,comdat
.Lfunc_end22:
	.size	_ZN9rocsparseL49gtsv_nopivot_strided_batch_pcr_pow2_shared_kernelILj4EdEEviiiPKT0_S3_S3_PS1_, .Lfunc_end22-_ZN9rocsparseL49gtsv_nopivot_strided_batch_pcr_pow2_shared_kernelILj4EdEEviiiPKT0_S3_S3_PS1_
                                        ; -- End function
	.section	.AMDGPU.csdata,"",@progbits
; Kernel info:
; codeLenInByte = 908
; NumSgprs: 18
; NumVgprs: 38
; ScratchSize: 0
; MemoryBound: 1
; FloatMode: 240
; IeeeMode: 1
; LDSByteSize: 232 bytes/workgroup (compile time only)
; SGPRBlocks: 2
; VGPRBlocks: 4
; NumSGPRsForWavesPerEU: 18
; NumVGPRsForWavesPerEU: 38
; Occupancy: 16
; WaveLimiterHint : 1
; COMPUTE_PGM_RSRC2:SCRATCH_EN: 0
; COMPUTE_PGM_RSRC2:USER_SGPR: 15
; COMPUTE_PGM_RSRC2:TRAP_HANDLER: 0
; COMPUTE_PGM_RSRC2:TGID_X_EN: 1
; COMPUTE_PGM_RSRC2:TGID_Y_EN: 0
; COMPUTE_PGM_RSRC2:TGID_Z_EN: 0
; COMPUTE_PGM_RSRC2:TIDIG_COMP_CNT: 0
	.section	.text._ZN9rocsparseL49gtsv_nopivot_strided_batch_pcr_pow2_shared_kernelILj8EdEEviiiPKT0_S3_S3_PS1_,"axG",@progbits,_ZN9rocsparseL49gtsv_nopivot_strided_batch_pcr_pow2_shared_kernelILj8EdEEviiiPKT0_S3_S3_PS1_,comdat
	.globl	_ZN9rocsparseL49gtsv_nopivot_strided_batch_pcr_pow2_shared_kernelILj8EdEEviiiPKT0_S3_S3_PS1_ ; -- Begin function _ZN9rocsparseL49gtsv_nopivot_strided_batch_pcr_pow2_shared_kernelILj8EdEEviiiPKT0_S3_S3_PS1_
	.p2align	8
	.type	_ZN9rocsparseL49gtsv_nopivot_strided_batch_pcr_pow2_shared_kernelILj8EdEEviiiPKT0_S3_S3_PS1_,@function
_ZN9rocsparseL49gtsv_nopivot_strided_batch_pcr_pow2_shared_kernelILj8EdEEviiiPKT0_S3_S3_PS1_: ; @_ZN9rocsparseL49gtsv_nopivot_strided_batch_pcr_pow2_shared_kernelILj8EdEEviiiPKT0_S3_S3_PS1_
; %bb.0:
	s_clause 0x1
	s_load_b32 s8, s[0:1], 0x8
	s_load_b256 s[0:7], s[0:1], 0x10
	s_waitcnt lgkmcnt(0)
	v_mad_u64_u32 v[1:2], null, s15, s8, v[0:1]
	s_delay_alu instid0(VALU_DEP_1) | instskip(NEXT) | instid1(VALU_DEP_1)
	v_ashrrev_i32_e32 v2, 31, v1
	v_lshlrev_b64 v[1:2], 3, v[1:2]
	s_delay_alu instid0(VALU_DEP_1) | instskip(NEXT) | instid1(VALU_DEP_2)
	v_add_co_u32 v3, vcc_lo, s0, v1
	v_add_co_ci_u32_e32 v4, vcc_lo, s1, v2, vcc_lo
	v_add_co_u32 v5, vcc_lo, s2, v1
	v_add_co_ci_u32_e32 v6, vcc_lo, s3, v2, vcc_lo
	;; [unrolled: 2-line block ×4, first 2 shown]
	global_load_b64 v[9:10], v[3:4], off
	global_load_b64 v[4:5], v[5:6], off
	global_load_b64 v[6:7], v[7:8], off
	global_load_b64 v[11:12], v[1:2], off
	v_max_u32_e32 v8, 1, v0
	v_lshlrev_b32_e32 v3, 3, v0
	s_waitcnt vmcnt(2)
	ds_store_2addr_b64 v3, v[9:10], v[4:5] offset1:10
	s_waitcnt vmcnt(0)
	ds_store_2addr_b64 v3, v[6:7], v[11:12] offset0:20 offset1:40
	v_lshlrev_b32_e32 v36, 3, v8
	s_waitcnt vmcnt(0) lgkmcnt(0)
	s_waitcnt_vscnt null, 0x0
	; wave barrier
	s_waitcnt lgkmcnt(0)
	buffer_gl0_inv
	ds_load_2addr_b64 v[4:7], v3 offset1:10
	ds_load_2addr_b64 v[8:11], v36 offset0:9 offset1:19
	v_min_u32_e32 v12, 6, v0
	s_delay_alu instid0(VALU_DEP_1)
	v_lshlrev_b32_e32 v37, 3, v12
	ds_load_2addr_b64 v[12:15], v3 offset0:20 offset1:40
	ds_load_2addr_b64 v[16:19], v37 offset0:1 offset1:11
	s_waitcnt lgkmcnt(2)
	v_div_scale_f64 v[20:21], null, v[8:9], v[8:9], v[4:5]
	v_div_scale_f64 v[32:33], vcc_lo, v[4:5], v[8:9], v[4:5]
	s_waitcnt lgkmcnt(0)
	v_div_scale_f64 v[22:23], null, v[18:19], v[18:19], v[12:13]
	s_delay_alu instid0(VALU_DEP_3) | instskip(NEXT) | instid1(VALU_DEP_1)
	v_rcp_f64_e32 v[24:25], v[20:21]
	v_rcp_f64_e32 v[26:27], v[22:23]
	s_waitcnt_depctr 0xfff
	v_fma_f64 v[28:29], -v[20:21], v[24:25], 1.0
	v_fma_f64 v[30:31], -v[22:23], v[26:27], 1.0
	s_delay_alu instid0(VALU_DEP_2) | instskip(NEXT) | instid1(VALU_DEP_2)
	v_fma_f64 v[24:25], v[24:25], v[28:29], v[24:25]
	v_fma_f64 v[26:27], v[26:27], v[30:31], v[26:27]
	s_delay_alu instid0(VALU_DEP_2) | instskip(NEXT) | instid1(VALU_DEP_2)
	v_fma_f64 v[28:29], -v[20:21], v[24:25], 1.0
	v_fma_f64 v[30:31], -v[22:23], v[26:27], 1.0
	s_delay_alu instid0(VALU_DEP_2) | instskip(SKIP_1) | instid1(VALU_DEP_3)
	v_fma_f64 v[24:25], v[24:25], v[28:29], v[24:25]
	v_div_scale_f64 v[28:29], s0, v[12:13], v[18:19], v[12:13]
	v_fma_f64 v[26:27], v[26:27], v[30:31], v[26:27]
	s_delay_alu instid0(VALU_DEP_3) | instskip(NEXT) | instid1(VALU_DEP_2)
	v_mul_f64 v[30:31], v[32:33], v[24:25]
	v_mul_f64 v[34:35], v[28:29], v[26:27]
	s_delay_alu instid0(VALU_DEP_2) | instskip(NEXT) | instid1(VALU_DEP_2)
	v_fma_f64 v[20:21], -v[20:21], v[30:31], v[32:33]
	v_fma_f64 v[22:23], -v[22:23], v[34:35], v[28:29]
	s_delay_alu instid0(VALU_DEP_2) | instskip(SKIP_1) | instid1(VALU_DEP_2)
	v_div_fmas_f64 v[20:21], v[20:21], v[24:25], v[30:31]
	s_mov_b32 vcc_lo, s0
	v_div_fmas_f64 v[22:23], v[22:23], v[26:27], v[34:35]
	s_delay_alu instid0(VALU_DEP_2)
	v_div_fixup_f64 v[8:9], v[20:21], v[8:9], v[4:5]
	ds_load_b64 v[4:5], v36 offset:312
	v_add_nc_u32_e32 v20, -8, v36
	ds_load_b64 v[20:21], v20
	v_div_fixup_f64 v[12:13], v[22:23], v[18:19], v[12:13]
	v_fma_f64 v[10:11], -v[8:9], v[10:11], v[6:7]
	s_waitcnt lgkmcnt(1)
	v_fma_f64 v[14:15], -v[8:9], v[4:5], v[14:15]
	ds_load_2addr_b64 v[4:7], v37 offset0:21 offset1:41
	s_waitcnt lgkmcnt(1)
	v_mul_f64 v[8:9], v[8:9], -v[20:21]
	s_waitcnt vmcnt(0) lgkmcnt(0)
	s_waitcnt_vscnt null, 0x0
	; wave barrier
	s_waitcnt lgkmcnt(0)
	buffer_gl0_inv
	v_mul_f64 v[4:5], v[12:13], -v[4:5]
	v_fma_f64 v[10:11], -v[12:13], v[16:17], v[10:11]
	v_fma_f64 v[6:7], -v[12:13], v[6:7], v[14:15]
	v_max_u32_e32 v12, 2, v0
	ds_store_2addr_b64 v3, v[8:9], v[10:11] offset1:10
	ds_store_2addr_b64 v3, v[4:5], v[6:7] offset0:20 offset1:40
	v_lshlrev_b32_e32 v36, 3, v12
	s_waitcnt vmcnt(0) lgkmcnt(0)
	s_waitcnt_vscnt null, 0x0
	; wave barrier
	s_waitcnt lgkmcnt(0)
	buffer_gl0_inv
	ds_load_2addr_b64 v[4:7], v3 offset1:10
	ds_load_2addr_b64 v[8:11], v36 offset0:8 offset1:18
	v_min_u32_e32 v12, 5, v0
	s_delay_alu instid0(VALU_DEP_1)
	v_lshlrev_b32_e32 v37, 3, v12
	ds_load_2addr_b64 v[12:15], v3 offset0:20 offset1:40
	ds_load_2addr_b64 v[16:19], v37 offset0:2 offset1:12
	s_waitcnt lgkmcnt(2)
	v_div_scale_f64 v[20:21], null, v[8:9], v[8:9], v[4:5]
	v_div_scale_f64 v[32:33], vcc_lo, v[4:5], v[8:9], v[4:5]
	s_waitcnt lgkmcnt(0)
	v_div_scale_f64 v[22:23], null, v[18:19], v[18:19], v[12:13]
	s_delay_alu instid0(VALU_DEP_3) | instskip(NEXT) | instid1(VALU_DEP_1)
	v_rcp_f64_e32 v[24:25], v[20:21]
	v_rcp_f64_e32 v[26:27], v[22:23]
	s_waitcnt_depctr 0xfff
	v_fma_f64 v[28:29], -v[20:21], v[24:25], 1.0
	v_fma_f64 v[30:31], -v[22:23], v[26:27], 1.0
	s_delay_alu instid0(VALU_DEP_2) | instskip(NEXT) | instid1(VALU_DEP_2)
	v_fma_f64 v[24:25], v[24:25], v[28:29], v[24:25]
	v_fma_f64 v[26:27], v[26:27], v[30:31], v[26:27]
	s_delay_alu instid0(VALU_DEP_2) | instskip(NEXT) | instid1(VALU_DEP_2)
	v_fma_f64 v[28:29], -v[20:21], v[24:25], 1.0
	v_fma_f64 v[30:31], -v[22:23], v[26:27], 1.0
	s_delay_alu instid0(VALU_DEP_2) | instskip(SKIP_1) | instid1(VALU_DEP_3)
	v_fma_f64 v[24:25], v[24:25], v[28:29], v[24:25]
	v_div_scale_f64 v[28:29], s0, v[12:13], v[18:19], v[12:13]
	v_fma_f64 v[26:27], v[26:27], v[30:31], v[26:27]
	s_delay_alu instid0(VALU_DEP_3) | instskip(NEXT) | instid1(VALU_DEP_2)
	v_mul_f64 v[30:31], v[32:33], v[24:25]
	v_mul_f64 v[34:35], v[28:29], v[26:27]
	s_delay_alu instid0(VALU_DEP_2) | instskip(NEXT) | instid1(VALU_DEP_2)
	v_fma_f64 v[20:21], -v[20:21], v[30:31], v[32:33]
	v_fma_f64 v[22:23], -v[22:23], v[34:35], v[28:29]
	s_delay_alu instid0(VALU_DEP_2) | instskip(SKIP_2) | instid1(VALU_DEP_2)
	v_div_fmas_f64 v[20:21], v[20:21], v[24:25], v[30:31]
	s_mov_b32 vcc_lo, s0
	s_mov_b32 s0, exec_lo
	v_div_fmas_f64 v[22:23], v[22:23], v[26:27], v[34:35]
	s_delay_alu instid0(VALU_DEP_2)
	v_div_fixup_f64 v[8:9], v[20:21], v[8:9], v[4:5]
	ds_load_b64 v[4:5], v36 offset:304
	v_add_nc_u32_e32 v20, -16, v36
	ds_load_b64 v[20:21], v20
	v_div_fixup_f64 v[12:13], v[22:23], v[18:19], v[12:13]
	v_fma_f64 v[10:11], -v[8:9], v[10:11], v[6:7]
	s_waitcnt lgkmcnt(1)
	v_fma_f64 v[14:15], -v[8:9], v[4:5], v[14:15]
	ds_load_2addr_b64 v[4:7], v37 offset0:22 offset1:42
	s_waitcnt lgkmcnt(1)
	v_mul_f64 v[8:9], v[8:9], -v[20:21]
	s_waitcnt vmcnt(0) lgkmcnt(0)
	s_waitcnt_vscnt null, 0x0
	; wave barrier
	s_waitcnt lgkmcnt(0)
	buffer_gl0_inv
	v_mul_f64 v[4:5], v[12:13], -v[4:5]
	v_fma_f64 v[10:11], -v[12:13], v[16:17], v[10:11]
	v_fma_f64 v[6:7], -v[12:13], v[6:7], v[14:15]
	ds_store_2addr_b64 v3, v[8:9], v[10:11] offset1:10
	ds_store_2addr_b64 v3, v[4:5], v[6:7] offset0:20 offset1:40
	s_waitcnt vmcnt(0) lgkmcnt(0)
	s_waitcnt_vscnt null, 0x0
	; wave barrier
	s_waitcnt lgkmcnt(0)
	buffer_gl0_inv
	v_cmpx_gt_u32_e32 4, v0
	s_cbranch_execz .LBB23_2
; %bb.1:
	v_add_nc_u32_e32 v0, 0xa0, v3
	ds_load_b64 v[12:13], v0
	ds_load_b64 v[14:15], v3 offset:32
	v_add_nc_u32_e32 v0, 0x50, v3
	ds_load_2addr_b64 v[4:7], v0 offset1:4
	v_or_b32_e32 v0, 0x140, v3
	s_waitcnt lgkmcnt(1)
	v_mul_f64 v[8:9], v[12:13], v[14:15]
	s_waitcnt lgkmcnt(0)
	s_delay_alu instid0(VALU_DEP_1) | instskip(NEXT) | instid1(VALU_DEP_1)
	v_fma_f64 v[16:17], v[6:7], v[4:5], -v[8:9]
	v_div_scale_f64 v[8:9], null, v[16:17], v[16:17], 1.0
	v_div_scale_f64 v[20:21], vcc_lo, 1.0, v[16:17], 1.0
	s_delay_alu instid0(VALU_DEP_2) | instskip(SKIP_2) | instid1(VALU_DEP_1)
	v_rcp_f64_e32 v[10:11], v[8:9]
	s_waitcnt_depctr 0xfff
	v_fma_f64 v[18:19], -v[8:9], v[10:11], 1.0
	v_fma_f64 v[10:11], v[10:11], v[18:19], v[10:11]
	s_delay_alu instid0(VALU_DEP_1) | instskip(NEXT) | instid1(VALU_DEP_1)
	v_fma_f64 v[18:19], -v[8:9], v[10:11], 1.0
	v_fma_f64 v[18:19], v[10:11], v[18:19], v[10:11]
	s_delay_alu instid0(VALU_DEP_1) | instskip(NEXT) | instid1(VALU_DEP_1)
	v_mul_f64 v[22:23], v[20:21], v[18:19]
	v_fma_f64 v[20:21], -v[8:9], v[22:23], v[20:21]
	ds_load_2addr_b64 v[8:11], v0 offset1:4
	s_waitcnt lgkmcnt(0)
	v_mul_f64 v[12:13], v[12:13], v[10:11]
	v_mul_f64 v[14:15], v[14:15], v[8:9]
	v_div_fmas_f64 v[18:19], v[20:21], v[18:19], v[22:23]
	s_delay_alu instid0(VALU_DEP_3) | instskip(NEXT) | instid1(VALU_DEP_3)
	v_fma_f64 v[6:7], v[6:7], v[8:9], -v[12:13]
	v_fma_f64 v[4:5], v[4:5], v[10:11], -v[14:15]
	s_delay_alu instid0(VALU_DEP_3) | instskip(NEXT) | instid1(VALU_DEP_1)
	v_div_fixup_f64 v[8:9], v[18:19], v[16:17], 1.0
	v_mul_f64 v[6:7], v[8:9], v[6:7]
	s_delay_alu instid0(VALU_DEP_3)
	v_mul_f64 v[4:5], v[8:9], v[4:5]
	ds_store_2addr_b64 v3, v[6:7], v[4:5] offset0:30 offset1:34
.LBB23_2:
	s_or_b32 exec_lo, exec_lo, s0
	s_waitcnt vmcnt(0) lgkmcnt(0)
	s_waitcnt_vscnt null, 0x0
	; wave barrier
	s_waitcnt lgkmcnt(0)
	buffer_gl0_inv
	ds_load_b64 v[3:4], v3 offset:240
	s_waitcnt lgkmcnt(0)
	global_store_b64 v[1:2], v[3:4], off
	s_nop 0
	s_sendmsg sendmsg(MSG_DEALLOC_VGPRS)
	s_endpgm
	.section	.rodata,"a",@progbits
	.p2align	6, 0x0
	.amdhsa_kernel _ZN9rocsparseL49gtsv_nopivot_strided_batch_pcr_pow2_shared_kernelILj8EdEEviiiPKT0_S3_S3_PS1_
		.amdhsa_group_segment_fixed_size 392
		.amdhsa_private_segment_fixed_size 0
		.amdhsa_kernarg_size 48
		.amdhsa_user_sgpr_count 15
		.amdhsa_user_sgpr_dispatch_ptr 0
		.amdhsa_user_sgpr_queue_ptr 0
		.amdhsa_user_sgpr_kernarg_segment_ptr 1
		.amdhsa_user_sgpr_dispatch_id 0
		.amdhsa_user_sgpr_private_segment_size 0
		.amdhsa_wavefront_size32 1
		.amdhsa_uses_dynamic_stack 0
		.amdhsa_enable_private_segment 0
		.amdhsa_system_sgpr_workgroup_id_x 1
		.amdhsa_system_sgpr_workgroup_id_y 0
		.amdhsa_system_sgpr_workgroup_id_z 0
		.amdhsa_system_sgpr_workgroup_info 0
		.amdhsa_system_vgpr_workitem_id 0
		.amdhsa_next_free_vgpr 38
		.amdhsa_next_free_sgpr 16
		.amdhsa_reserve_vcc 1
		.amdhsa_float_round_mode_32 0
		.amdhsa_float_round_mode_16_64 0
		.amdhsa_float_denorm_mode_32 3
		.amdhsa_float_denorm_mode_16_64 3
		.amdhsa_dx10_clamp 1
		.amdhsa_ieee_mode 1
		.amdhsa_fp16_overflow 0
		.amdhsa_workgroup_processor_mode 1
		.amdhsa_memory_ordered 1
		.amdhsa_forward_progress 0
		.amdhsa_shared_vgpr_count 0
		.amdhsa_exception_fp_ieee_invalid_op 0
		.amdhsa_exception_fp_denorm_src 0
		.amdhsa_exception_fp_ieee_div_zero 0
		.amdhsa_exception_fp_ieee_overflow 0
		.amdhsa_exception_fp_ieee_underflow 0
		.amdhsa_exception_fp_ieee_inexact 0
		.amdhsa_exception_int_div_zero 0
	.end_amdhsa_kernel
	.section	.text._ZN9rocsparseL49gtsv_nopivot_strided_batch_pcr_pow2_shared_kernelILj8EdEEviiiPKT0_S3_S3_PS1_,"axG",@progbits,_ZN9rocsparseL49gtsv_nopivot_strided_batch_pcr_pow2_shared_kernelILj8EdEEviiiPKT0_S3_S3_PS1_,comdat
.Lfunc_end23:
	.size	_ZN9rocsparseL49gtsv_nopivot_strided_batch_pcr_pow2_shared_kernelILj8EdEEviiiPKT0_S3_S3_PS1_, .Lfunc_end23-_ZN9rocsparseL49gtsv_nopivot_strided_batch_pcr_pow2_shared_kernelILj8EdEEviiiPKT0_S3_S3_PS1_
                                        ; -- End function
	.section	.AMDGPU.csdata,"",@progbits
; Kernel info:
; codeLenInByte = 1320
; NumSgprs: 18
; NumVgprs: 38
; ScratchSize: 0
; MemoryBound: 1
; FloatMode: 240
; IeeeMode: 1
; LDSByteSize: 392 bytes/workgroup (compile time only)
; SGPRBlocks: 2
; VGPRBlocks: 4
; NumSGPRsForWavesPerEU: 18
; NumVGPRsForWavesPerEU: 38
; Occupancy: 16
; WaveLimiterHint : 1
; COMPUTE_PGM_RSRC2:SCRATCH_EN: 0
; COMPUTE_PGM_RSRC2:USER_SGPR: 15
; COMPUTE_PGM_RSRC2:TRAP_HANDLER: 0
; COMPUTE_PGM_RSRC2:TGID_X_EN: 1
; COMPUTE_PGM_RSRC2:TGID_Y_EN: 0
; COMPUTE_PGM_RSRC2:TGID_Z_EN: 0
; COMPUTE_PGM_RSRC2:TIDIG_COMP_CNT: 0
	.section	.text._ZN9rocsparseL49gtsv_nopivot_strided_batch_pcr_pow2_shared_kernelILj16EdEEviiiPKT0_S3_S3_PS1_,"axG",@progbits,_ZN9rocsparseL49gtsv_nopivot_strided_batch_pcr_pow2_shared_kernelILj16EdEEviiiPKT0_S3_S3_PS1_,comdat
	.globl	_ZN9rocsparseL49gtsv_nopivot_strided_batch_pcr_pow2_shared_kernelILj16EdEEviiiPKT0_S3_S3_PS1_ ; -- Begin function _ZN9rocsparseL49gtsv_nopivot_strided_batch_pcr_pow2_shared_kernelILj16EdEEviiiPKT0_S3_S3_PS1_
	.p2align	8
	.type	_ZN9rocsparseL49gtsv_nopivot_strided_batch_pcr_pow2_shared_kernelILj16EdEEviiiPKT0_S3_S3_PS1_,@function
_ZN9rocsparseL49gtsv_nopivot_strided_batch_pcr_pow2_shared_kernelILj16EdEEviiiPKT0_S3_S3_PS1_: ; @_ZN9rocsparseL49gtsv_nopivot_strided_batch_pcr_pow2_shared_kernelILj16EdEEviiiPKT0_S3_S3_PS1_
; %bb.0:
	s_clause 0x1
	s_load_b32 s8, s[0:1], 0x8
	s_load_b256 s[0:7], s[0:1], 0x10
	s_waitcnt lgkmcnt(0)
	v_mad_u64_u32 v[1:2], null, s15, s8, v[0:1]
	s_delay_alu instid0(VALU_DEP_1) | instskip(NEXT) | instid1(VALU_DEP_1)
	v_ashrrev_i32_e32 v2, 31, v1
	v_lshlrev_b64 v[1:2], 3, v[1:2]
	s_delay_alu instid0(VALU_DEP_1) | instskip(NEXT) | instid1(VALU_DEP_2)
	v_add_co_u32 v3, vcc_lo, s0, v1
	v_add_co_ci_u32_e32 v4, vcc_lo, s1, v2, vcc_lo
	v_add_co_u32 v5, vcc_lo, s2, v1
	v_add_co_ci_u32_e32 v6, vcc_lo, s3, v2, vcc_lo
	;; [unrolled: 2-line block ×4, first 2 shown]
	global_load_b64 v[9:10], v[3:4], off
	global_load_b64 v[4:5], v[5:6], off
	;; [unrolled: 1-line block ×4, first 2 shown]
	v_max_u32_e32 v8, 1, v0
	v_lshlrev_b32_e32 v3, 3, v0
	s_waitcnt vmcnt(2)
	ds_store_2addr_b64 v3, v[9:10], v[4:5] offset1:18
	s_waitcnt vmcnt(0)
	ds_store_2addr_b64 v3, v[6:7], v[11:12] offset0:36 offset1:72
	v_lshlrev_b32_e32 v36, 3, v8
	s_waitcnt vmcnt(0) lgkmcnt(0)
	s_waitcnt_vscnt null, 0x0
	; wave barrier
	s_waitcnt lgkmcnt(0)
	buffer_gl0_inv
	ds_load_2addr_b64 v[4:7], v3 offset1:18
	ds_load_2addr_b64 v[8:11], v36 offset0:17 offset1:35
	v_min_u32_e32 v12, 14, v0
	s_delay_alu instid0(VALU_DEP_1)
	v_lshlrev_b32_e32 v37, 3, v12
	ds_load_2addr_b64 v[12:15], v3 offset0:36 offset1:72
	ds_load_2addr_b64 v[16:19], v37 offset0:1 offset1:19
	s_waitcnt lgkmcnt(2)
	v_div_scale_f64 v[20:21], null, v[8:9], v[8:9], v[4:5]
	v_div_scale_f64 v[32:33], vcc_lo, v[4:5], v[8:9], v[4:5]
	s_waitcnt lgkmcnt(0)
	v_div_scale_f64 v[22:23], null, v[18:19], v[18:19], v[12:13]
	s_delay_alu instid0(VALU_DEP_3) | instskip(NEXT) | instid1(VALU_DEP_1)
	v_rcp_f64_e32 v[24:25], v[20:21]
	v_rcp_f64_e32 v[26:27], v[22:23]
	s_waitcnt_depctr 0xfff
	v_fma_f64 v[28:29], -v[20:21], v[24:25], 1.0
	v_fma_f64 v[30:31], -v[22:23], v[26:27], 1.0
	s_delay_alu instid0(VALU_DEP_2) | instskip(NEXT) | instid1(VALU_DEP_2)
	v_fma_f64 v[24:25], v[24:25], v[28:29], v[24:25]
	v_fma_f64 v[26:27], v[26:27], v[30:31], v[26:27]
	s_delay_alu instid0(VALU_DEP_2) | instskip(NEXT) | instid1(VALU_DEP_2)
	v_fma_f64 v[28:29], -v[20:21], v[24:25], 1.0
	v_fma_f64 v[30:31], -v[22:23], v[26:27], 1.0
	s_delay_alu instid0(VALU_DEP_2) | instskip(SKIP_1) | instid1(VALU_DEP_3)
	v_fma_f64 v[24:25], v[24:25], v[28:29], v[24:25]
	v_div_scale_f64 v[28:29], s0, v[12:13], v[18:19], v[12:13]
	v_fma_f64 v[26:27], v[26:27], v[30:31], v[26:27]
	s_delay_alu instid0(VALU_DEP_3) | instskip(NEXT) | instid1(VALU_DEP_2)
	v_mul_f64 v[30:31], v[32:33], v[24:25]
	v_mul_f64 v[34:35], v[28:29], v[26:27]
	s_delay_alu instid0(VALU_DEP_2) | instskip(NEXT) | instid1(VALU_DEP_2)
	v_fma_f64 v[20:21], -v[20:21], v[30:31], v[32:33]
	v_fma_f64 v[22:23], -v[22:23], v[34:35], v[28:29]
	s_delay_alu instid0(VALU_DEP_2) | instskip(SKIP_1) | instid1(VALU_DEP_2)
	v_div_fmas_f64 v[20:21], v[20:21], v[24:25], v[30:31]
	s_mov_b32 vcc_lo, s0
	v_div_fmas_f64 v[22:23], v[22:23], v[26:27], v[34:35]
	s_delay_alu instid0(VALU_DEP_2)
	v_div_fixup_f64 v[8:9], v[20:21], v[8:9], v[4:5]
	ds_load_b64 v[4:5], v36 offset:568
	v_add_nc_u32_e32 v20, -8, v36
	ds_load_b64 v[20:21], v20
	v_div_fixup_f64 v[12:13], v[22:23], v[18:19], v[12:13]
	v_fma_f64 v[10:11], -v[8:9], v[10:11], v[6:7]
	s_waitcnt lgkmcnt(1)
	v_fma_f64 v[14:15], -v[8:9], v[4:5], v[14:15]
	ds_load_2addr_b64 v[4:7], v37 offset0:37 offset1:73
	s_waitcnt lgkmcnt(1)
	v_mul_f64 v[8:9], v[8:9], -v[20:21]
	s_waitcnt vmcnt(0) lgkmcnt(0)
	s_waitcnt_vscnt null, 0x0
	; wave barrier
	s_waitcnt lgkmcnt(0)
	buffer_gl0_inv
	v_mul_f64 v[4:5], v[12:13], -v[4:5]
	v_fma_f64 v[10:11], -v[12:13], v[16:17], v[10:11]
	v_fma_f64 v[6:7], -v[12:13], v[6:7], v[14:15]
	v_max_u32_e32 v12, 2, v0
	ds_store_2addr_b64 v3, v[8:9], v[10:11] offset1:18
	ds_store_2addr_b64 v3, v[4:5], v[6:7] offset0:36 offset1:72
	v_lshlrev_b32_e32 v36, 3, v12
	s_waitcnt vmcnt(0) lgkmcnt(0)
	s_waitcnt_vscnt null, 0x0
	; wave barrier
	s_waitcnt lgkmcnt(0)
	buffer_gl0_inv
	ds_load_2addr_b64 v[4:7], v3 offset1:18
	ds_load_2addr_b64 v[8:11], v36 offset0:16 offset1:34
	v_min_u32_e32 v12, 13, v0
	s_delay_alu instid0(VALU_DEP_1)
	v_lshlrev_b32_e32 v37, 3, v12
	ds_load_2addr_b64 v[12:15], v3 offset0:36 offset1:72
	ds_load_2addr_b64 v[16:19], v37 offset0:2 offset1:20
	s_waitcnt lgkmcnt(2)
	v_div_scale_f64 v[20:21], null, v[8:9], v[8:9], v[4:5]
	v_div_scale_f64 v[32:33], vcc_lo, v[4:5], v[8:9], v[4:5]
	s_waitcnt lgkmcnt(0)
	v_div_scale_f64 v[22:23], null, v[18:19], v[18:19], v[12:13]
	s_delay_alu instid0(VALU_DEP_3) | instskip(NEXT) | instid1(VALU_DEP_1)
	v_rcp_f64_e32 v[24:25], v[20:21]
	v_rcp_f64_e32 v[26:27], v[22:23]
	s_waitcnt_depctr 0xfff
	v_fma_f64 v[28:29], -v[20:21], v[24:25], 1.0
	v_fma_f64 v[30:31], -v[22:23], v[26:27], 1.0
	s_delay_alu instid0(VALU_DEP_2) | instskip(NEXT) | instid1(VALU_DEP_2)
	v_fma_f64 v[24:25], v[24:25], v[28:29], v[24:25]
	v_fma_f64 v[26:27], v[26:27], v[30:31], v[26:27]
	s_delay_alu instid0(VALU_DEP_2) | instskip(NEXT) | instid1(VALU_DEP_2)
	v_fma_f64 v[28:29], -v[20:21], v[24:25], 1.0
	v_fma_f64 v[30:31], -v[22:23], v[26:27], 1.0
	s_delay_alu instid0(VALU_DEP_2) | instskip(SKIP_1) | instid1(VALU_DEP_3)
	v_fma_f64 v[24:25], v[24:25], v[28:29], v[24:25]
	v_div_scale_f64 v[28:29], s0, v[12:13], v[18:19], v[12:13]
	v_fma_f64 v[26:27], v[26:27], v[30:31], v[26:27]
	s_delay_alu instid0(VALU_DEP_3) | instskip(NEXT) | instid1(VALU_DEP_2)
	v_mul_f64 v[30:31], v[32:33], v[24:25]
	v_mul_f64 v[34:35], v[28:29], v[26:27]
	s_delay_alu instid0(VALU_DEP_2) | instskip(NEXT) | instid1(VALU_DEP_2)
	v_fma_f64 v[20:21], -v[20:21], v[30:31], v[32:33]
	v_fma_f64 v[22:23], -v[22:23], v[34:35], v[28:29]
	s_delay_alu instid0(VALU_DEP_2) | instskip(SKIP_1) | instid1(VALU_DEP_2)
	v_div_fmas_f64 v[20:21], v[20:21], v[24:25], v[30:31]
	s_mov_b32 vcc_lo, s0
	v_div_fmas_f64 v[22:23], v[22:23], v[26:27], v[34:35]
	s_delay_alu instid0(VALU_DEP_2)
	v_div_fixup_f64 v[8:9], v[20:21], v[8:9], v[4:5]
	ds_load_b64 v[4:5], v36 offset:560
	v_add_nc_u32_e32 v20, -16, v36
	ds_load_b64 v[20:21], v20
	v_div_fixup_f64 v[12:13], v[22:23], v[18:19], v[12:13]
	v_fma_f64 v[10:11], -v[8:9], v[10:11], v[6:7]
	s_waitcnt lgkmcnt(1)
	v_fma_f64 v[14:15], -v[8:9], v[4:5], v[14:15]
	ds_load_2addr_b64 v[4:7], v37 offset0:38 offset1:74
	s_waitcnt lgkmcnt(1)
	v_mul_f64 v[8:9], v[8:9], -v[20:21]
	s_waitcnt vmcnt(0) lgkmcnt(0)
	s_waitcnt_vscnt null, 0x0
	; wave barrier
	s_waitcnt lgkmcnt(0)
	buffer_gl0_inv
	v_mul_f64 v[4:5], v[12:13], -v[4:5]
	v_fma_f64 v[10:11], -v[12:13], v[16:17], v[10:11]
	v_fma_f64 v[6:7], -v[12:13], v[6:7], v[14:15]
	v_max_u32_e32 v12, 4, v0
	ds_store_2addr_b64 v3, v[8:9], v[10:11] offset1:18
	ds_store_2addr_b64 v3, v[4:5], v[6:7] offset0:36 offset1:72
	v_lshlrev_b32_e32 v36, 3, v12
	s_waitcnt vmcnt(0) lgkmcnt(0)
	s_waitcnt_vscnt null, 0x0
	; wave barrier
	s_waitcnt lgkmcnt(0)
	buffer_gl0_inv
	ds_load_2addr_b64 v[4:7], v3 offset1:18
	ds_load_2addr_b64 v[8:11], v36 offset0:14 offset1:32
	v_min_u32_e32 v12, 11, v0
	s_delay_alu instid0(VALU_DEP_1)
	v_lshlrev_b32_e32 v37, 3, v12
	ds_load_2addr_b64 v[12:15], v3 offset0:36 offset1:72
	ds_load_2addr_b64 v[16:19], v37 offset0:4 offset1:22
	s_waitcnt lgkmcnt(2)
	v_div_scale_f64 v[20:21], null, v[8:9], v[8:9], v[4:5]
	v_div_scale_f64 v[32:33], vcc_lo, v[4:5], v[8:9], v[4:5]
	s_waitcnt lgkmcnt(0)
	v_div_scale_f64 v[22:23], null, v[18:19], v[18:19], v[12:13]
	s_delay_alu instid0(VALU_DEP_3) | instskip(NEXT) | instid1(VALU_DEP_1)
	v_rcp_f64_e32 v[24:25], v[20:21]
	v_rcp_f64_e32 v[26:27], v[22:23]
	s_waitcnt_depctr 0xfff
	v_fma_f64 v[28:29], -v[20:21], v[24:25], 1.0
	v_fma_f64 v[30:31], -v[22:23], v[26:27], 1.0
	s_delay_alu instid0(VALU_DEP_2) | instskip(NEXT) | instid1(VALU_DEP_2)
	v_fma_f64 v[24:25], v[24:25], v[28:29], v[24:25]
	v_fma_f64 v[26:27], v[26:27], v[30:31], v[26:27]
	s_delay_alu instid0(VALU_DEP_2) | instskip(NEXT) | instid1(VALU_DEP_2)
	v_fma_f64 v[28:29], -v[20:21], v[24:25], 1.0
	v_fma_f64 v[30:31], -v[22:23], v[26:27], 1.0
	s_delay_alu instid0(VALU_DEP_2) | instskip(SKIP_1) | instid1(VALU_DEP_3)
	v_fma_f64 v[24:25], v[24:25], v[28:29], v[24:25]
	v_div_scale_f64 v[28:29], s0, v[12:13], v[18:19], v[12:13]
	v_fma_f64 v[26:27], v[26:27], v[30:31], v[26:27]
	s_delay_alu instid0(VALU_DEP_3) | instskip(NEXT) | instid1(VALU_DEP_2)
	v_mul_f64 v[30:31], v[32:33], v[24:25]
	v_mul_f64 v[34:35], v[28:29], v[26:27]
	s_delay_alu instid0(VALU_DEP_2) | instskip(NEXT) | instid1(VALU_DEP_2)
	v_fma_f64 v[20:21], -v[20:21], v[30:31], v[32:33]
	v_fma_f64 v[22:23], -v[22:23], v[34:35], v[28:29]
	s_delay_alu instid0(VALU_DEP_2) | instskip(SKIP_2) | instid1(VALU_DEP_2)
	v_div_fmas_f64 v[20:21], v[20:21], v[24:25], v[30:31]
	s_mov_b32 vcc_lo, s0
	s_mov_b32 s0, exec_lo
	v_div_fmas_f64 v[22:23], v[22:23], v[26:27], v[34:35]
	s_delay_alu instid0(VALU_DEP_2)
	v_div_fixup_f64 v[8:9], v[20:21], v[8:9], v[4:5]
	ds_load_b64 v[4:5], v36 offset:544
	v_subrev_nc_u32_e32 v20, 32, v36
	ds_load_b64 v[20:21], v20
	v_div_fixup_f64 v[12:13], v[22:23], v[18:19], v[12:13]
	v_fma_f64 v[10:11], -v[8:9], v[10:11], v[6:7]
	s_waitcnt lgkmcnt(1)
	v_fma_f64 v[14:15], -v[8:9], v[4:5], v[14:15]
	ds_load_2addr_b64 v[4:7], v37 offset0:40 offset1:76
	s_waitcnt lgkmcnt(1)
	v_mul_f64 v[8:9], v[8:9], -v[20:21]
	s_waitcnt vmcnt(0) lgkmcnt(0)
	s_waitcnt_vscnt null, 0x0
	; wave barrier
	s_waitcnt lgkmcnt(0)
	buffer_gl0_inv
	v_mul_f64 v[4:5], v[12:13], -v[4:5]
	v_fma_f64 v[10:11], -v[12:13], v[16:17], v[10:11]
	v_fma_f64 v[6:7], -v[12:13], v[6:7], v[14:15]
	ds_store_2addr_b64 v3, v[8:9], v[10:11] offset1:18
	ds_store_2addr_b64 v3, v[4:5], v[6:7] offset0:36 offset1:72
	s_waitcnt vmcnt(0) lgkmcnt(0)
	s_waitcnt_vscnt null, 0x0
	; wave barrier
	s_waitcnt lgkmcnt(0)
	buffer_gl0_inv
	v_cmpx_gt_u32_e32 8, v0
	s_cbranch_execz .LBB24_2
; %bb.1:
	v_add_nc_u32_e32 v0, 0x120, v3
	ds_load_b64 v[12:13], v0
	ds_load_b64 v[14:15], v3 offset:64
	v_add_nc_u32_e32 v0, 0x90, v3
	ds_load_2addr_b64 v[4:7], v0 offset1:8
	v_add_nc_u32_e32 v0, 0x240, v3
	s_waitcnt lgkmcnt(1)
	v_mul_f64 v[8:9], v[12:13], v[14:15]
	s_waitcnt lgkmcnt(0)
	s_delay_alu instid0(VALU_DEP_1) | instskip(NEXT) | instid1(VALU_DEP_1)
	v_fma_f64 v[16:17], v[6:7], v[4:5], -v[8:9]
	v_div_scale_f64 v[8:9], null, v[16:17], v[16:17], 1.0
	v_div_scale_f64 v[20:21], vcc_lo, 1.0, v[16:17], 1.0
	s_delay_alu instid0(VALU_DEP_2) | instskip(SKIP_2) | instid1(VALU_DEP_1)
	v_rcp_f64_e32 v[10:11], v[8:9]
	s_waitcnt_depctr 0xfff
	v_fma_f64 v[18:19], -v[8:9], v[10:11], 1.0
	v_fma_f64 v[10:11], v[10:11], v[18:19], v[10:11]
	s_delay_alu instid0(VALU_DEP_1) | instskip(NEXT) | instid1(VALU_DEP_1)
	v_fma_f64 v[18:19], -v[8:9], v[10:11], 1.0
	v_fma_f64 v[18:19], v[10:11], v[18:19], v[10:11]
	s_delay_alu instid0(VALU_DEP_1) | instskip(NEXT) | instid1(VALU_DEP_1)
	v_mul_f64 v[22:23], v[20:21], v[18:19]
	v_fma_f64 v[20:21], -v[8:9], v[22:23], v[20:21]
	ds_load_2addr_b64 v[8:11], v0 offset1:8
	s_waitcnt lgkmcnt(0)
	v_mul_f64 v[12:13], v[12:13], v[10:11]
	v_mul_f64 v[14:15], v[14:15], v[8:9]
	v_div_fmas_f64 v[18:19], v[20:21], v[18:19], v[22:23]
	s_delay_alu instid0(VALU_DEP_3) | instskip(NEXT) | instid1(VALU_DEP_3)
	v_fma_f64 v[6:7], v[6:7], v[8:9], -v[12:13]
	v_fma_f64 v[4:5], v[4:5], v[10:11], -v[14:15]
	s_delay_alu instid0(VALU_DEP_3) | instskip(NEXT) | instid1(VALU_DEP_1)
	v_div_fixup_f64 v[8:9], v[18:19], v[16:17], 1.0
	v_mul_f64 v[6:7], v[8:9], v[6:7]
	s_delay_alu instid0(VALU_DEP_3)
	v_mul_f64 v[4:5], v[8:9], v[4:5]
	ds_store_2addr_b64 v3, v[6:7], v[4:5] offset0:54 offset1:62
.LBB24_2:
	s_or_b32 exec_lo, exec_lo, s0
	s_waitcnt vmcnt(0) lgkmcnt(0)
	s_waitcnt_vscnt null, 0x0
	; wave barrier
	s_waitcnt lgkmcnt(0)
	buffer_gl0_inv
	ds_load_b64 v[3:4], v3 offset:432
	s_waitcnt lgkmcnt(0)
	global_store_b64 v[1:2], v[3:4], off
	s_nop 0
	s_sendmsg sendmsg(MSG_DEALLOC_VGPRS)
	s_endpgm
	.section	.rodata,"a",@progbits
	.p2align	6, 0x0
	.amdhsa_kernel _ZN9rocsparseL49gtsv_nopivot_strided_batch_pcr_pow2_shared_kernelILj16EdEEviiiPKT0_S3_S3_PS1_
		.amdhsa_group_segment_fixed_size 712
		.amdhsa_private_segment_fixed_size 0
		.amdhsa_kernarg_size 48
		.amdhsa_user_sgpr_count 15
		.amdhsa_user_sgpr_dispatch_ptr 0
		.amdhsa_user_sgpr_queue_ptr 0
		.amdhsa_user_sgpr_kernarg_segment_ptr 1
		.amdhsa_user_sgpr_dispatch_id 0
		.amdhsa_user_sgpr_private_segment_size 0
		.amdhsa_wavefront_size32 1
		.amdhsa_uses_dynamic_stack 0
		.amdhsa_enable_private_segment 0
		.amdhsa_system_sgpr_workgroup_id_x 1
		.amdhsa_system_sgpr_workgroup_id_y 0
		.amdhsa_system_sgpr_workgroup_id_z 0
		.amdhsa_system_sgpr_workgroup_info 0
		.amdhsa_system_vgpr_workitem_id 0
		.amdhsa_next_free_vgpr 38
		.amdhsa_next_free_sgpr 16
		.amdhsa_reserve_vcc 1
		.amdhsa_float_round_mode_32 0
		.amdhsa_float_round_mode_16_64 0
		.amdhsa_float_denorm_mode_32 3
		.amdhsa_float_denorm_mode_16_64 3
		.amdhsa_dx10_clamp 1
		.amdhsa_ieee_mode 1
		.amdhsa_fp16_overflow 0
		.amdhsa_workgroup_processor_mode 1
		.amdhsa_memory_ordered 1
		.amdhsa_forward_progress 0
		.amdhsa_shared_vgpr_count 0
		.amdhsa_exception_fp_ieee_invalid_op 0
		.amdhsa_exception_fp_denorm_src 0
		.amdhsa_exception_fp_ieee_div_zero 0
		.amdhsa_exception_fp_ieee_overflow 0
		.amdhsa_exception_fp_ieee_underflow 0
		.amdhsa_exception_fp_ieee_inexact 0
		.amdhsa_exception_int_div_zero 0
	.end_amdhsa_kernel
	.section	.text._ZN9rocsparseL49gtsv_nopivot_strided_batch_pcr_pow2_shared_kernelILj16EdEEviiiPKT0_S3_S3_PS1_,"axG",@progbits,_ZN9rocsparseL49gtsv_nopivot_strided_batch_pcr_pow2_shared_kernelILj16EdEEviiiPKT0_S3_S3_PS1_,comdat
.Lfunc_end24:
	.size	_ZN9rocsparseL49gtsv_nopivot_strided_batch_pcr_pow2_shared_kernelILj16EdEEviiiPKT0_S3_S3_PS1_, .Lfunc_end24-_ZN9rocsparseL49gtsv_nopivot_strided_batch_pcr_pow2_shared_kernelILj16EdEEviiiPKT0_S3_S3_PS1_
                                        ; -- End function
	.section	.AMDGPU.csdata,"",@progbits
; Kernel info:
; codeLenInByte = 1728
; NumSgprs: 18
; NumVgprs: 38
; ScratchSize: 0
; MemoryBound: 1
; FloatMode: 240
; IeeeMode: 1
; LDSByteSize: 712 bytes/workgroup (compile time only)
; SGPRBlocks: 2
; VGPRBlocks: 4
; NumSGPRsForWavesPerEU: 18
; NumVGPRsForWavesPerEU: 38
; Occupancy: 16
; WaveLimiterHint : 1
; COMPUTE_PGM_RSRC2:SCRATCH_EN: 0
; COMPUTE_PGM_RSRC2:USER_SGPR: 15
; COMPUTE_PGM_RSRC2:TRAP_HANDLER: 0
; COMPUTE_PGM_RSRC2:TGID_X_EN: 1
; COMPUTE_PGM_RSRC2:TGID_Y_EN: 0
; COMPUTE_PGM_RSRC2:TGID_Z_EN: 0
; COMPUTE_PGM_RSRC2:TIDIG_COMP_CNT: 0
	.section	.text._ZN9rocsparseL49gtsv_nopivot_strided_batch_pcr_pow2_shared_kernelILj32EdEEviiiPKT0_S3_S3_PS1_,"axG",@progbits,_ZN9rocsparseL49gtsv_nopivot_strided_batch_pcr_pow2_shared_kernelILj32EdEEviiiPKT0_S3_S3_PS1_,comdat
	.globl	_ZN9rocsparseL49gtsv_nopivot_strided_batch_pcr_pow2_shared_kernelILj32EdEEviiiPKT0_S3_S3_PS1_ ; -- Begin function _ZN9rocsparseL49gtsv_nopivot_strided_batch_pcr_pow2_shared_kernelILj32EdEEviiiPKT0_S3_S3_PS1_
	.p2align	8
	.type	_ZN9rocsparseL49gtsv_nopivot_strided_batch_pcr_pow2_shared_kernelILj32EdEEviiiPKT0_S3_S3_PS1_,@function
_ZN9rocsparseL49gtsv_nopivot_strided_batch_pcr_pow2_shared_kernelILj32EdEEviiiPKT0_S3_S3_PS1_: ; @_ZN9rocsparseL49gtsv_nopivot_strided_batch_pcr_pow2_shared_kernelILj32EdEEviiiPKT0_S3_S3_PS1_
; %bb.0:
	s_clause 0x1
	s_load_b32 s8, s[0:1], 0x8
	s_load_b256 s[0:7], s[0:1], 0x10
	s_waitcnt lgkmcnt(0)
	v_mad_u64_u32 v[1:2], null, s15, s8, v[0:1]
	s_delay_alu instid0(VALU_DEP_1) | instskip(NEXT) | instid1(VALU_DEP_1)
	v_ashrrev_i32_e32 v2, 31, v1
	v_lshlrev_b64 v[1:2], 3, v[1:2]
	s_delay_alu instid0(VALU_DEP_1) | instskip(NEXT) | instid1(VALU_DEP_2)
	v_add_co_u32 v3, vcc_lo, s0, v1
	v_add_co_ci_u32_e32 v4, vcc_lo, s1, v2, vcc_lo
	v_add_co_u32 v5, vcc_lo, s2, v1
	v_add_co_ci_u32_e32 v6, vcc_lo, s3, v2, vcc_lo
	v_add_co_u32 v7, vcc_lo, s4, v1
	v_add_co_ci_u32_e32 v8, vcc_lo, s5, v2, vcc_lo
	v_add_co_u32 v1, vcc_lo, s6, v1
	v_add_co_ci_u32_e32 v2, vcc_lo, s7, v2, vcc_lo
	global_load_b64 v[9:10], v[3:4], off
	global_load_b64 v[4:5], v[5:6], off
	;; [unrolled: 1-line block ×4, first 2 shown]
	v_max_u32_e32 v8, 1, v0
	v_lshlrev_b32_e32 v3, 3, v0
	s_waitcnt vmcnt(2)
	ds_store_2addr_b64 v3, v[9:10], v[4:5] offset1:34
	s_waitcnt vmcnt(0)
	ds_store_2addr_b64 v3, v[6:7], v[11:12] offset0:68 offset1:136
	v_lshlrev_b32_e32 v36, 3, v8
	s_waitcnt vmcnt(0) lgkmcnt(0)
	s_waitcnt_vscnt null, 0x0
	; wave barrier
	s_waitcnt lgkmcnt(0)
	buffer_gl0_inv
	ds_load_2addr_b64 v[4:7], v3 offset1:34
	ds_load_2addr_b64 v[8:11], v36 offset0:33 offset1:67
	v_min_u32_e32 v12, 30, v0
	s_delay_alu instid0(VALU_DEP_1)
	v_lshlrev_b32_e32 v37, 3, v12
	ds_load_2addr_b64 v[12:15], v3 offset0:68 offset1:136
	ds_load_2addr_b64 v[16:19], v37 offset0:1 offset1:35
	s_waitcnt lgkmcnt(2)
	v_div_scale_f64 v[20:21], null, v[8:9], v[8:9], v[4:5]
	v_div_scale_f64 v[32:33], vcc_lo, v[4:5], v[8:9], v[4:5]
	s_waitcnt lgkmcnt(0)
	v_div_scale_f64 v[22:23], null, v[18:19], v[18:19], v[12:13]
	s_delay_alu instid0(VALU_DEP_3) | instskip(NEXT) | instid1(VALU_DEP_1)
	v_rcp_f64_e32 v[24:25], v[20:21]
	v_rcp_f64_e32 v[26:27], v[22:23]
	s_waitcnt_depctr 0xfff
	v_fma_f64 v[28:29], -v[20:21], v[24:25], 1.0
	v_fma_f64 v[30:31], -v[22:23], v[26:27], 1.0
	s_delay_alu instid0(VALU_DEP_2) | instskip(NEXT) | instid1(VALU_DEP_2)
	v_fma_f64 v[24:25], v[24:25], v[28:29], v[24:25]
	v_fma_f64 v[26:27], v[26:27], v[30:31], v[26:27]
	s_delay_alu instid0(VALU_DEP_2) | instskip(NEXT) | instid1(VALU_DEP_2)
	v_fma_f64 v[28:29], -v[20:21], v[24:25], 1.0
	v_fma_f64 v[30:31], -v[22:23], v[26:27], 1.0
	s_delay_alu instid0(VALU_DEP_2) | instskip(SKIP_1) | instid1(VALU_DEP_3)
	v_fma_f64 v[24:25], v[24:25], v[28:29], v[24:25]
	v_div_scale_f64 v[28:29], s0, v[12:13], v[18:19], v[12:13]
	v_fma_f64 v[26:27], v[26:27], v[30:31], v[26:27]
	s_delay_alu instid0(VALU_DEP_3) | instskip(NEXT) | instid1(VALU_DEP_2)
	v_mul_f64 v[30:31], v[32:33], v[24:25]
	v_mul_f64 v[34:35], v[28:29], v[26:27]
	s_delay_alu instid0(VALU_DEP_2) | instskip(NEXT) | instid1(VALU_DEP_2)
	v_fma_f64 v[20:21], -v[20:21], v[30:31], v[32:33]
	v_fma_f64 v[22:23], -v[22:23], v[34:35], v[28:29]
	s_delay_alu instid0(VALU_DEP_2) | instskip(SKIP_1) | instid1(VALU_DEP_2)
	v_div_fmas_f64 v[20:21], v[20:21], v[24:25], v[30:31]
	s_mov_b32 vcc_lo, s0
	v_div_fmas_f64 v[22:23], v[22:23], v[26:27], v[34:35]
	s_delay_alu instid0(VALU_DEP_2)
	v_div_fixup_f64 v[8:9], v[20:21], v[8:9], v[4:5]
	ds_load_b64 v[4:5], v36 offset:1080
	v_add_nc_u32_e32 v20, -8, v36
	ds_load_b64 v[20:21], v20
	v_div_fixup_f64 v[12:13], v[22:23], v[18:19], v[12:13]
	v_fma_f64 v[10:11], -v[8:9], v[10:11], v[6:7]
	s_waitcnt lgkmcnt(1)
	v_fma_f64 v[14:15], -v[8:9], v[4:5], v[14:15]
	ds_load_2addr_b64 v[4:7], v37 offset0:69 offset1:137
	s_waitcnt lgkmcnt(1)
	v_mul_f64 v[8:9], v[8:9], -v[20:21]
	s_waitcnt vmcnt(0) lgkmcnt(0)
	s_waitcnt_vscnt null, 0x0
	; wave barrier
	s_waitcnt lgkmcnt(0)
	buffer_gl0_inv
	v_mul_f64 v[4:5], v[12:13], -v[4:5]
	v_fma_f64 v[10:11], -v[12:13], v[16:17], v[10:11]
	v_fma_f64 v[6:7], -v[12:13], v[6:7], v[14:15]
	v_max_u32_e32 v12, 2, v0
	ds_store_2addr_b64 v3, v[8:9], v[10:11] offset1:34
	ds_store_2addr_b64 v3, v[4:5], v[6:7] offset0:68 offset1:136
	v_lshlrev_b32_e32 v36, 3, v12
	s_waitcnt vmcnt(0) lgkmcnt(0)
	s_waitcnt_vscnt null, 0x0
	; wave barrier
	s_waitcnt lgkmcnt(0)
	buffer_gl0_inv
	ds_load_2addr_b64 v[4:7], v3 offset1:34
	ds_load_2addr_b64 v[8:11], v36 offset0:32 offset1:66
	v_min_u32_e32 v12, 29, v0
	s_delay_alu instid0(VALU_DEP_1)
	v_lshlrev_b32_e32 v37, 3, v12
	ds_load_2addr_b64 v[12:15], v3 offset0:68 offset1:136
	ds_load_2addr_b64 v[16:19], v37 offset0:2 offset1:36
	s_waitcnt lgkmcnt(2)
	v_div_scale_f64 v[20:21], null, v[8:9], v[8:9], v[4:5]
	v_div_scale_f64 v[32:33], vcc_lo, v[4:5], v[8:9], v[4:5]
	s_waitcnt lgkmcnt(0)
	v_div_scale_f64 v[22:23], null, v[18:19], v[18:19], v[12:13]
	s_delay_alu instid0(VALU_DEP_3) | instskip(NEXT) | instid1(VALU_DEP_1)
	v_rcp_f64_e32 v[24:25], v[20:21]
	v_rcp_f64_e32 v[26:27], v[22:23]
	s_waitcnt_depctr 0xfff
	v_fma_f64 v[28:29], -v[20:21], v[24:25], 1.0
	v_fma_f64 v[30:31], -v[22:23], v[26:27], 1.0
	s_delay_alu instid0(VALU_DEP_2) | instskip(NEXT) | instid1(VALU_DEP_2)
	v_fma_f64 v[24:25], v[24:25], v[28:29], v[24:25]
	v_fma_f64 v[26:27], v[26:27], v[30:31], v[26:27]
	s_delay_alu instid0(VALU_DEP_2) | instskip(NEXT) | instid1(VALU_DEP_2)
	v_fma_f64 v[28:29], -v[20:21], v[24:25], 1.0
	v_fma_f64 v[30:31], -v[22:23], v[26:27], 1.0
	s_delay_alu instid0(VALU_DEP_2) | instskip(SKIP_1) | instid1(VALU_DEP_3)
	v_fma_f64 v[24:25], v[24:25], v[28:29], v[24:25]
	v_div_scale_f64 v[28:29], s0, v[12:13], v[18:19], v[12:13]
	v_fma_f64 v[26:27], v[26:27], v[30:31], v[26:27]
	s_delay_alu instid0(VALU_DEP_3) | instskip(NEXT) | instid1(VALU_DEP_2)
	v_mul_f64 v[30:31], v[32:33], v[24:25]
	v_mul_f64 v[34:35], v[28:29], v[26:27]
	s_delay_alu instid0(VALU_DEP_2) | instskip(NEXT) | instid1(VALU_DEP_2)
	v_fma_f64 v[20:21], -v[20:21], v[30:31], v[32:33]
	v_fma_f64 v[22:23], -v[22:23], v[34:35], v[28:29]
	s_delay_alu instid0(VALU_DEP_2) | instskip(SKIP_1) | instid1(VALU_DEP_2)
	v_div_fmas_f64 v[20:21], v[20:21], v[24:25], v[30:31]
	s_mov_b32 vcc_lo, s0
	v_div_fmas_f64 v[22:23], v[22:23], v[26:27], v[34:35]
	s_delay_alu instid0(VALU_DEP_2)
	v_div_fixup_f64 v[8:9], v[20:21], v[8:9], v[4:5]
	ds_load_b64 v[4:5], v36 offset:1072
	v_add_nc_u32_e32 v20, -16, v36
	ds_load_b64 v[20:21], v20
	v_div_fixup_f64 v[12:13], v[22:23], v[18:19], v[12:13]
	v_fma_f64 v[10:11], -v[8:9], v[10:11], v[6:7]
	s_waitcnt lgkmcnt(1)
	v_fma_f64 v[14:15], -v[8:9], v[4:5], v[14:15]
	ds_load_2addr_b64 v[4:7], v37 offset0:70 offset1:138
	s_waitcnt lgkmcnt(1)
	v_mul_f64 v[8:9], v[8:9], -v[20:21]
	s_waitcnt vmcnt(0) lgkmcnt(0)
	s_waitcnt_vscnt null, 0x0
	; wave barrier
	s_waitcnt lgkmcnt(0)
	buffer_gl0_inv
	v_mul_f64 v[4:5], v[12:13], -v[4:5]
	v_fma_f64 v[10:11], -v[12:13], v[16:17], v[10:11]
	v_fma_f64 v[6:7], -v[12:13], v[6:7], v[14:15]
	v_max_u32_e32 v12, 4, v0
	ds_store_2addr_b64 v3, v[8:9], v[10:11] offset1:34
	ds_store_2addr_b64 v3, v[4:5], v[6:7] offset0:68 offset1:136
	v_lshlrev_b32_e32 v36, 3, v12
	s_waitcnt vmcnt(0) lgkmcnt(0)
	s_waitcnt_vscnt null, 0x0
	; wave barrier
	s_waitcnt lgkmcnt(0)
	buffer_gl0_inv
	ds_load_2addr_b64 v[4:7], v3 offset1:34
	ds_load_2addr_b64 v[8:11], v36 offset0:30 offset1:64
	v_min_u32_e32 v12, 27, v0
	s_delay_alu instid0(VALU_DEP_1)
	v_lshlrev_b32_e32 v37, 3, v12
	ds_load_2addr_b64 v[12:15], v3 offset0:68 offset1:136
	ds_load_2addr_b64 v[16:19], v37 offset0:4 offset1:38
	s_waitcnt lgkmcnt(2)
	v_div_scale_f64 v[20:21], null, v[8:9], v[8:9], v[4:5]
	v_div_scale_f64 v[32:33], vcc_lo, v[4:5], v[8:9], v[4:5]
	s_waitcnt lgkmcnt(0)
	v_div_scale_f64 v[22:23], null, v[18:19], v[18:19], v[12:13]
	s_delay_alu instid0(VALU_DEP_3) | instskip(NEXT) | instid1(VALU_DEP_1)
	v_rcp_f64_e32 v[24:25], v[20:21]
	v_rcp_f64_e32 v[26:27], v[22:23]
	s_waitcnt_depctr 0xfff
	v_fma_f64 v[28:29], -v[20:21], v[24:25], 1.0
	v_fma_f64 v[30:31], -v[22:23], v[26:27], 1.0
	s_delay_alu instid0(VALU_DEP_2) | instskip(NEXT) | instid1(VALU_DEP_2)
	v_fma_f64 v[24:25], v[24:25], v[28:29], v[24:25]
	v_fma_f64 v[26:27], v[26:27], v[30:31], v[26:27]
	s_delay_alu instid0(VALU_DEP_2) | instskip(NEXT) | instid1(VALU_DEP_2)
	v_fma_f64 v[28:29], -v[20:21], v[24:25], 1.0
	v_fma_f64 v[30:31], -v[22:23], v[26:27], 1.0
	s_delay_alu instid0(VALU_DEP_2) | instskip(SKIP_1) | instid1(VALU_DEP_3)
	v_fma_f64 v[24:25], v[24:25], v[28:29], v[24:25]
	v_div_scale_f64 v[28:29], s0, v[12:13], v[18:19], v[12:13]
	v_fma_f64 v[26:27], v[26:27], v[30:31], v[26:27]
	s_delay_alu instid0(VALU_DEP_3) | instskip(NEXT) | instid1(VALU_DEP_2)
	v_mul_f64 v[30:31], v[32:33], v[24:25]
	v_mul_f64 v[34:35], v[28:29], v[26:27]
	s_delay_alu instid0(VALU_DEP_2) | instskip(NEXT) | instid1(VALU_DEP_2)
	v_fma_f64 v[20:21], -v[20:21], v[30:31], v[32:33]
	v_fma_f64 v[22:23], -v[22:23], v[34:35], v[28:29]
	s_delay_alu instid0(VALU_DEP_2) | instskip(SKIP_1) | instid1(VALU_DEP_2)
	v_div_fmas_f64 v[20:21], v[20:21], v[24:25], v[30:31]
	s_mov_b32 vcc_lo, s0
	v_div_fmas_f64 v[22:23], v[22:23], v[26:27], v[34:35]
	s_delay_alu instid0(VALU_DEP_2)
	v_div_fixup_f64 v[8:9], v[20:21], v[8:9], v[4:5]
	ds_load_b64 v[4:5], v36 offset:1056
	v_subrev_nc_u32_e32 v20, 32, v36
	ds_load_b64 v[20:21], v20
	v_div_fixup_f64 v[12:13], v[22:23], v[18:19], v[12:13]
	v_fma_f64 v[10:11], -v[8:9], v[10:11], v[6:7]
	s_waitcnt lgkmcnt(1)
	v_fma_f64 v[14:15], -v[8:9], v[4:5], v[14:15]
	ds_load_2addr_b64 v[4:7], v37 offset0:72 offset1:140
	s_waitcnt lgkmcnt(1)
	v_mul_f64 v[8:9], v[8:9], -v[20:21]
	s_waitcnt vmcnt(0) lgkmcnt(0)
	s_waitcnt_vscnt null, 0x0
	; wave barrier
	s_waitcnt lgkmcnt(0)
	buffer_gl0_inv
	v_mul_f64 v[4:5], v[12:13], -v[4:5]
	v_fma_f64 v[10:11], -v[12:13], v[16:17], v[10:11]
	v_fma_f64 v[6:7], -v[12:13], v[6:7], v[14:15]
	v_max_u32_e32 v12, 8, v0
	ds_store_2addr_b64 v3, v[8:9], v[10:11] offset1:34
	ds_store_2addr_b64 v3, v[4:5], v[6:7] offset0:68 offset1:136
	v_lshlrev_b32_e32 v36, 3, v12
	s_waitcnt vmcnt(0) lgkmcnt(0)
	s_waitcnt_vscnt null, 0x0
	; wave barrier
	s_waitcnt lgkmcnt(0)
	buffer_gl0_inv
	ds_load_2addr_b64 v[4:7], v3 offset1:34
	ds_load_2addr_b64 v[8:11], v36 offset0:26 offset1:60
	v_min_u32_e32 v12, 23, v0
	s_delay_alu instid0(VALU_DEP_1)
	v_lshlrev_b32_e32 v37, 3, v12
	ds_load_2addr_b64 v[12:15], v3 offset0:68 offset1:136
	ds_load_2addr_b64 v[16:19], v37 offset0:8 offset1:42
	s_waitcnt lgkmcnt(2)
	v_div_scale_f64 v[20:21], null, v[8:9], v[8:9], v[4:5]
	v_div_scale_f64 v[32:33], vcc_lo, v[4:5], v[8:9], v[4:5]
	s_waitcnt lgkmcnt(0)
	v_div_scale_f64 v[22:23], null, v[18:19], v[18:19], v[12:13]
	s_delay_alu instid0(VALU_DEP_3) | instskip(NEXT) | instid1(VALU_DEP_1)
	v_rcp_f64_e32 v[24:25], v[20:21]
	v_rcp_f64_e32 v[26:27], v[22:23]
	s_waitcnt_depctr 0xfff
	v_fma_f64 v[28:29], -v[20:21], v[24:25], 1.0
	v_fma_f64 v[30:31], -v[22:23], v[26:27], 1.0
	s_delay_alu instid0(VALU_DEP_2) | instskip(NEXT) | instid1(VALU_DEP_2)
	v_fma_f64 v[24:25], v[24:25], v[28:29], v[24:25]
	v_fma_f64 v[26:27], v[26:27], v[30:31], v[26:27]
	s_delay_alu instid0(VALU_DEP_2) | instskip(NEXT) | instid1(VALU_DEP_2)
	v_fma_f64 v[28:29], -v[20:21], v[24:25], 1.0
	v_fma_f64 v[30:31], -v[22:23], v[26:27], 1.0
	s_delay_alu instid0(VALU_DEP_2) | instskip(SKIP_1) | instid1(VALU_DEP_3)
	v_fma_f64 v[24:25], v[24:25], v[28:29], v[24:25]
	v_div_scale_f64 v[28:29], s0, v[12:13], v[18:19], v[12:13]
	v_fma_f64 v[26:27], v[26:27], v[30:31], v[26:27]
	s_delay_alu instid0(VALU_DEP_3) | instskip(NEXT) | instid1(VALU_DEP_2)
	v_mul_f64 v[30:31], v[32:33], v[24:25]
	v_mul_f64 v[34:35], v[28:29], v[26:27]
	s_delay_alu instid0(VALU_DEP_2) | instskip(NEXT) | instid1(VALU_DEP_2)
	v_fma_f64 v[20:21], -v[20:21], v[30:31], v[32:33]
	v_fma_f64 v[22:23], -v[22:23], v[34:35], v[28:29]
	s_delay_alu instid0(VALU_DEP_2) | instskip(SKIP_2) | instid1(VALU_DEP_2)
	v_div_fmas_f64 v[20:21], v[20:21], v[24:25], v[30:31]
	s_mov_b32 vcc_lo, s0
	s_mov_b32 s0, exec_lo
	v_div_fmas_f64 v[22:23], v[22:23], v[26:27], v[34:35]
	s_delay_alu instid0(VALU_DEP_2)
	v_div_fixup_f64 v[8:9], v[20:21], v[8:9], v[4:5]
	ds_load_b64 v[4:5], v36 offset:1024
	v_subrev_nc_u32_e32 v20, 64, v36
	ds_load_b64 v[20:21], v20
	v_div_fixup_f64 v[12:13], v[22:23], v[18:19], v[12:13]
	v_fma_f64 v[10:11], -v[8:9], v[10:11], v[6:7]
	s_waitcnt lgkmcnt(1)
	v_fma_f64 v[14:15], -v[8:9], v[4:5], v[14:15]
	ds_load_2addr_b64 v[4:7], v37 offset0:76 offset1:144
	s_waitcnt lgkmcnt(1)
	v_mul_f64 v[8:9], v[8:9], -v[20:21]
	s_waitcnt vmcnt(0) lgkmcnt(0)
	s_waitcnt_vscnt null, 0x0
	; wave barrier
	s_waitcnt lgkmcnt(0)
	buffer_gl0_inv
	v_mul_f64 v[4:5], v[12:13], -v[4:5]
	v_fma_f64 v[10:11], -v[12:13], v[16:17], v[10:11]
	v_fma_f64 v[6:7], -v[12:13], v[6:7], v[14:15]
	ds_store_2addr_b64 v3, v[8:9], v[10:11] offset1:34
	ds_store_2addr_b64 v3, v[4:5], v[6:7] offset0:68 offset1:136
	s_waitcnt vmcnt(0) lgkmcnt(0)
	s_waitcnt_vscnt null, 0x0
	; wave barrier
	s_waitcnt lgkmcnt(0)
	buffer_gl0_inv
	v_cmpx_gt_u32_e32 16, v0
	s_cbranch_execz .LBB25_2
; %bb.1:
	v_add_nc_u32_e32 v0, 0x220, v3
	ds_load_b64 v[12:13], v0
	ds_load_b64 v[14:15], v3 offset:128
	v_add_nc_u32_e32 v0, 0x110, v3
	ds_load_2addr_b64 v[4:7], v0 offset1:16
	v_add_nc_u32_e32 v0, 0x440, v3
	s_waitcnt lgkmcnt(1)
	v_mul_f64 v[8:9], v[12:13], v[14:15]
	s_waitcnt lgkmcnt(0)
	s_delay_alu instid0(VALU_DEP_1) | instskip(NEXT) | instid1(VALU_DEP_1)
	v_fma_f64 v[16:17], v[6:7], v[4:5], -v[8:9]
	v_div_scale_f64 v[8:9], null, v[16:17], v[16:17], 1.0
	v_div_scale_f64 v[20:21], vcc_lo, 1.0, v[16:17], 1.0
	s_delay_alu instid0(VALU_DEP_2) | instskip(SKIP_2) | instid1(VALU_DEP_1)
	v_rcp_f64_e32 v[10:11], v[8:9]
	s_waitcnt_depctr 0xfff
	v_fma_f64 v[18:19], -v[8:9], v[10:11], 1.0
	v_fma_f64 v[10:11], v[10:11], v[18:19], v[10:11]
	s_delay_alu instid0(VALU_DEP_1) | instskip(NEXT) | instid1(VALU_DEP_1)
	v_fma_f64 v[18:19], -v[8:9], v[10:11], 1.0
	v_fma_f64 v[18:19], v[10:11], v[18:19], v[10:11]
	s_delay_alu instid0(VALU_DEP_1) | instskip(NEXT) | instid1(VALU_DEP_1)
	v_mul_f64 v[22:23], v[20:21], v[18:19]
	v_fma_f64 v[20:21], -v[8:9], v[22:23], v[20:21]
	ds_load_2addr_b64 v[8:11], v0 offset1:16
	s_waitcnt lgkmcnt(0)
	v_mul_f64 v[12:13], v[12:13], v[10:11]
	v_mul_f64 v[14:15], v[14:15], v[8:9]
	v_div_fmas_f64 v[18:19], v[20:21], v[18:19], v[22:23]
	s_delay_alu instid0(VALU_DEP_3) | instskip(NEXT) | instid1(VALU_DEP_3)
	v_fma_f64 v[6:7], v[6:7], v[8:9], -v[12:13]
	v_fma_f64 v[4:5], v[4:5], v[10:11], -v[14:15]
	s_delay_alu instid0(VALU_DEP_3) | instskip(NEXT) | instid1(VALU_DEP_1)
	v_div_fixup_f64 v[8:9], v[18:19], v[16:17], 1.0
	v_mul_f64 v[6:7], v[8:9], v[6:7]
	s_delay_alu instid0(VALU_DEP_3)
	v_mul_f64 v[4:5], v[8:9], v[4:5]
	ds_store_2addr_b64 v3, v[6:7], v[4:5] offset0:102 offset1:118
.LBB25_2:
	s_or_b32 exec_lo, exec_lo, s0
	s_waitcnt vmcnt(0) lgkmcnt(0)
	s_waitcnt_vscnt null, 0x0
	; wave barrier
	s_waitcnt lgkmcnt(0)
	buffer_gl0_inv
	ds_load_b64 v[3:4], v3 offset:816
	s_waitcnt lgkmcnt(0)
	global_store_b64 v[1:2], v[3:4], off
	s_nop 0
	s_sendmsg sendmsg(MSG_DEALLOC_VGPRS)
	s_endpgm
	.section	.rodata,"a",@progbits
	.p2align	6, 0x0
	.amdhsa_kernel _ZN9rocsparseL49gtsv_nopivot_strided_batch_pcr_pow2_shared_kernelILj32EdEEviiiPKT0_S3_S3_PS1_
		.amdhsa_group_segment_fixed_size 1352
		.amdhsa_private_segment_fixed_size 0
		.amdhsa_kernarg_size 48
		.amdhsa_user_sgpr_count 15
		.amdhsa_user_sgpr_dispatch_ptr 0
		.amdhsa_user_sgpr_queue_ptr 0
		.amdhsa_user_sgpr_kernarg_segment_ptr 1
		.amdhsa_user_sgpr_dispatch_id 0
		.amdhsa_user_sgpr_private_segment_size 0
		.amdhsa_wavefront_size32 1
		.amdhsa_uses_dynamic_stack 0
		.amdhsa_enable_private_segment 0
		.amdhsa_system_sgpr_workgroup_id_x 1
		.amdhsa_system_sgpr_workgroup_id_y 0
		.amdhsa_system_sgpr_workgroup_id_z 0
		.amdhsa_system_sgpr_workgroup_info 0
		.amdhsa_system_vgpr_workitem_id 0
		.amdhsa_next_free_vgpr 38
		.amdhsa_next_free_sgpr 16
		.amdhsa_reserve_vcc 1
		.amdhsa_float_round_mode_32 0
		.amdhsa_float_round_mode_16_64 0
		.amdhsa_float_denorm_mode_32 3
		.amdhsa_float_denorm_mode_16_64 3
		.amdhsa_dx10_clamp 1
		.amdhsa_ieee_mode 1
		.amdhsa_fp16_overflow 0
		.amdhsa_workgroup_processor_mode 1
		.amdhsa_memory_ordered 1
		.amdhsa_forward_progress 0
		.amdhsa_shared_vgpr_count 0
		.amdhsa_exception_fp_ieee_invalid_op 0
		.amdhsa_exception_fp_denorm_src 0
		.amdhsa_exception_fp_ieee_div_zero 0
		.amdhsa_exception_fp_ieee_overflow 0
		.amdhsa_exception_fp_ieee_underflow 0
		.amdhsa_exception_fp_ieee_inexact 0
		.amdhsa_exception_int_div_zero 0
	.end_amdhsa_kernel
	.section	.text._ZN9rocsparseL49gtsv_nopivot_strided_batch_pcr_pow2_shared_kernelILj32EdEEviiiPKT0_S3_S3_PS1_,"axG",@progbits,_ZN9rocsparseL49gtsv_nopivot_strided_batch_pcr_pow2_shared_kernelILj32EdEEviiiPKT0_S3_S3_PS1_,comdat
.Lfunc_end25:
	.size	_ZN9rocsparseL49gtsv_nopivot_strided_batch_pcr_pow2_shared_kernelILj32EdEEviiiPKT0_S3_S3_PS1_, .Lfunc_end25-_ZN9rocsparseL49gtsv_nopivot_strided_batch_pcr_pow2_shared_kernelILj32EdEEviiiPKT0_S3_S3_PS1_
                                        ; -- End function
	.section	.AMDGPU.csdata,"",@progbits
; Kernel info:
; codeLenInByte = 2136
; NumSgprs: 18
; NumVgprs: 38
; ScratchSize: 0
; MemoryBound: 1
; FloatMode: 240
; IeeeMode: 1
; LDSByteSize: 1352 bytes/workgroup (compile time only)
; SGPRBlocks: 2
; VGPRBlocks: 4
; NumSGPRsForWavesPerEU: 18
; NumVGPRsForWavesPerEU: 38
; Occupancy: 16
; WaveLimiterHint : 1
; COMPUTE_PGM_RSRC2:SCRATCH_EN: 0
; COMPUTE_PGM_RSRC2:USER_SGPR: 15
; COMPUTE_PGM_RSRC2:TRAP_HANDLER: 0
; COMPUTE_PGM_RSRC2:TGID_X_EN: 1
; COMPUTE_PGM_RSRC2:TGID_Y_EN: 0
; COMPUTE_PGM_RSRC2:TGID_Z_EN: 0
; COMPUTE_PGM_RSRC2:TIDIG_COMP_CNT: 0
	.section	.text._ZN9rocsparseL49gtsv_nopivot_strided_batch_pcr_pow2_shared_kernelILj64EdEEviiiPKT0_S3_S3_PS1_,"axG",@progbits,_ZN9rocsparseL49gtsv_nopivot_strided_batch_pcr_pow2_shared_kernelILj64EdEEviiiPKT0_S3_S3_PS1_,comdat
	.globl	_ZN9rocsparseL49gtsv_nopivot_strided_batch_pcr_pow2_shared_kernelILj64EdEEviiiPKT0_S3_S3_PS1_ ; -- Begin function _ZN9rocsparseL49gtsv_nopivot_strided_batch_pcr_pow2_shared_kernelILj64EdEEviiiPKT0_S3_S3_PS1_
	.p2align	8
	.type	_ZN9rocsparseL49gtsv_nopivot_strided_batch_pcr_pow2_shared_kernelILj64EdEEviiiPKT0_S3_S3_PS1_,@function
_ZN9rocsparseL49gtsv_nopivot_strided_batch_pcr_pow2_shared_kernelILj64EdEEviiiPKT0_S3_S3_PS1_: ; @_ZN9rocsparseL49gtsv_nopivot_strided_batch_pcr_pow2_shared_kernelILj64EdEEviiiPKT0_S3_S3_PS1_
; %bb.0:
	s_clause 0x1
	s_load_b32 s8, s[0:1], 0x8
	s_load_b256 s[0:7], s[0:1], 0x10
	s_waitcnt lgkmcnt(0)
	v_mad_u64_u32 v[1:2], null, s15, s8, v[0:1]
	s_delay_alu instid0(VALU_DEP_1) | instskip(NEXT) | instid1(VALU_DEP_1)
	v_ashrrev_i32_e32 v2, 31, v1
	v_lshlrev_b64 v[1:2], 3, v[1:2]
	s_delay_alu instid0(VALU_DEP_1) | instskip(NEXT) | instid1(VALU_DEP_2)
	v_add_co_u32 v3, vcc_lo, s0, v1
	v_add_co_ci_u32_e32 v4, vcc_lo, s1, v2, vcc_lo
	v_add_co_u32 v5, vcc_lo, s2, v1
	v_add_co_ci_u32_e32 v6, vcc_lo, s3, v2, vcc_lo
	;; [unrolled: 2-line block ×4, first 2 shown]
	global_load_b64 v[9:10], v[3:4], off
	global_load_b64 v[4:5], v[5:6], off
	;; [unrolled: 1-line block ×4, first 2 shown]
	v_lshlrev_b32_e32 v3, 3, v0
	v_max_u32_e32 v8, 1, v0
	s_delay_alu instid0(VALU_DEP_2) | instskip(NEXT) | instid1(VALU_DEP_2)
	v_add_nc_u32_e32 v36, 0x400, v3
	v_lshlrev_b32_e32 v37, 3, v8
	s_waitcnt vmcnt(2)
	ds_store_2addr_b64 v3, v[9:10], v[4:5] offset1:66
	s_waitcnt vmcnt(0)
	ds_store_2addr_b64 v36, v[6:7], v[11:12] offset0:4 offset1:136
	s_waitcnt lgkmcnt(0)
	s_barrier
	buffer_gl0_inv
	ds_load_2addr_b64 v[4:7], v3 offset1:66
	ds_load_2addr_b64 v[8:11], v37 offset0:65 offset1:131
	v_min_u32_e32 v12, 62, v0
	s_delay_alu instid0(VALU_DEP_1)
	v_lshlrev_b32_e32 v38, 3, v12
	ds_load_2addr_b64 v[12:15], v36 offset0:4 offset1:136
	ds_load_2addr_b64 v[16:19], v38 offset0:1 offset1:67
	s_waitcnt lgkmcnt(2)
	v_div_scale_f64 v[20:21], null, v[8:9], v[8:9], v[4:5]
	v_div_scale_f64 v[32:33], vcc_lo, v[4:5], v[8:9], v[4:5]
	s_waitcnt lgkmcnt(0)
	v_div_scale_f64 v[22:23], null, v[18:19], v[18:19], v[12:13]
	s_delay_alu instid0(VALU_DEP_3) | instskip(NEXT) | instid1(VALU_DEP_1)
	v_rcp_f64_e32 v[24:25], v[20:21]
	v_rcp_f64_e32 v[26:27], v[22:23]
	s_waitcnt_depctr 0xfff
	v_fma_f64 v[28:29], -v[20:21], v[24:25], 1.0
	v_fma_f64 v[30:31], -v[22:23], v[26:27], 1.0
	s_delay_alu instid0(VALU_DEP_2) | instskip(NEXT) | instid1(VALU_DEP_2)
	v_fma_f64 v[24:25], v[24:25], v[28:29], v[24:25]
	v_fma_f64 v[26:27], v[26:27], v[30:31], v[26:27]
	s_delay_alu instid0(VALU_DEP_2) | instskip(NEXT) | instid1(VALU_DEP_2)
	v_fma_f64 v[28:29], -v[20:21], v[24:25], 1.0
	v_fma_f64 v[30:31], -v[22:23], v[26:27], 1.0
	s_delay_alu instid0(VALU_DEP_2) | instskip(SKIP_1) | instid1(VALU_DEP_3)
	v_fma_f64 v[24:25], v[24:25], v[28:29], v[24:25]
	v_div_scale_f64 v[28:29], s0, v[12:13], v[18:19], v[12:13]
	v_fma_f64 v[26:27], v[26:27], v[30:31], v[26:27]
	s_delay_alu instid0(VALU_DEP_3) | instskip(NEXT) | instid1(VALU_DEP_2)
	v_mul_f64 v[30:31], v[32:33], v[24:25]
	v_mul_f64 v[34:35], v[28:29], v[26:27]
	s_delay_alu instid0(VALU_DEP_2) | instskip(NEXT) | instid1(VALU_DEP_2)
	v_fma_f64 v[20:21], -v[20:21], v[30:31], v[32:33]
	v_fma_f64 v[22:23], -v[22:23], v[34:35], v[28:29]
	s_delay_alu instid0(VALU_DEP_2) | instskip(SKIP_1) | instid1(VALU_DEP_2)
	v_div_fmas_f64 v[20:21], v[20:21], v[24:25], v[30:31]
	s_mov_b32 vcc_lo, s0
	v_div_fmas_f64 v[22:23], v[22:23], v[26:27], v[34:35]
	s_delay_alu instid0(VALU_DEP_2)
	v_div_fixup_f64 v[8:9], v[20:21], v[8:9], v[4:5]
	ds_load_b64 v[4:5], v37 offset:2104
	v_add_nc_u32_e32 v20, -8, v37
	ds_load_b64 v[20:21], v20
	v_div_fixup_f64 v[12:13], v[22:23], v[18:19], v[12:13]
	v_fma_f64 v[10:11], -v[8:9], v[10:11], v[6:7]
	s_waitcnt lgkmcnt(1)
	v_fma_f64 v[14:15], -v[8:9], v[4:5], v[14:15]
	v_add_nc_u32_e32 v4, 0x400, v38
	s_waitcnt lgkmcnt(0)
	v_mul_f64 v[8:9], v[8:9], -v[20:21]
	ds_load_2addr_b64 v[4:7], v4 offset0:5 offset1:137
	s_waitcnt lgkmcnt(0)
	s_barrier
	buffer_gl0_inv
	v_mul_f64 v[4:5], v[12:13], -v[4:5]
	v_fma_f64 v[10:11], -v[12:13], v[16:17], v[10:11]
	v_fma_f64 v[6:7], -v[12:13], v[6:7], v[14:15]
	v_max_u32_e32 v12, 2, v0
	ds_store_2addr_b64 v3, v[8:9], v[10:11] offset1:66
	ds_store_2addr_b64 v36, v[4:5], v[6:7] offset0:4 offset1:136
	v_lshlrev_b32_e32 v37, 3, v12
	s_waitcnt lgkmcnt(0)
	s_barrier
	buffer_gl0_inv
	ds_load_2addr_b64 v[4:7], v3 offset1:66
	ds_load_2addr_b64 v[8:11], v37 offset0:64 offset1:130
	v_min_u32_e32 v12, 61, v0
	s_delay_alu instid0(VALU_DEP_1)
	v_lshlrev_b32_e32 v38, 3, v12
	ds_load_2addr_b64 v[12:15], v36 offset0:4 offset1:136
	ds_load_2addr_b64 v[16:19], v38 offset0:2 offset1:68
	s_waitcnt lgkmcnt(2)
	v_div_scale_f64 v[20:21], null, v[8:9], v[8:9], v[4:5]
	v_div_scale_f64 v[32:33], vcc_lo, v[4:5], v[8:9], v[4:5]
	s_waitcnt lgkmcnt(0)
	v_div_scale_f64 v[22:23], null, v[18:19], v[18:19], v[12:13]
	s_delay_alu instid0(VALU_DEP_3) | instskip(NEXT) | instid1(VALU_DEP_1)
	v_rcp_f64_e32 v[24:25], v[20:21]
	v_rcp_f64_e32 v[26:27], v[22:23]
	s_waitcnt_depctr 0xfff
	v_fma_f64 v[28:29], -v[20:21], v[24:25], 1.0
	v_fma_f64 v[30:31], -v[22:23], v[26:27], 1.0
	s_delay_alu instid0(VALU_DEP_2) | instskip(NEXT) | instid1(VALU_DEP_2)
	v_fma_f64 v[24:25], v[24:25], v[28:29], v[24:25]
	v_fma_f64 v[26:27], v[26:27], v[30:31], v[26:27]
	s_delay_alu instid0(VALU_DEP_2) | instskip(NEXT) | instid1(VALU_DEP_2)
	v_fma_f64 v[28:29], -v[20:21], v[24:25], 1.0
	v_fma_f64 v[30:31], -v[22:23], v[26:27], 1.0
	s_delay_alu instid0(VALU_DEP_2) | instskip(SKIP_1) | instid1(VALU_DEP_3)
	v_fma_f64 v[24:25], v[24:25], v[28:29], v[24:25]
	v_div_scale_f64 v[28:29], s0, v[12:13], v[18:19], v[12:13]
	v_fma_f64 v[26:27], v[26:27], v[30:31], v[26:27]
	s_delay_alu instid0(VALU_DEP_3) | instskip(NEXT) | instid1(VALU_DEP_2)
	v_mul_f64 v[30:31], v[32:33], v[24:25]
	v_mul_f64 v[34:35], v[28:29], v[26:27]
	s_delay_alu instid0(VALU_DEP_2) | instskip(NEXT) | instid1(VALU_DEP_2)
	v_fma_f64 v[20:21], -v[20:21], v[30:31], v[32:33]
	v_fma_f64 v[22:23], -v[22:23], v[34:35], v[28:29]
	s_delay_alu instid0(VALU_DEP_2) | instskip(SKIP_1) | instid1(VALU_DEP_2)
	v_div_fmas_f64 v[20:21], v[20:21], v[24:25], v[30:31]
	s_mov_b32 vcc_lo, s0
	v_div_fmas_f64 v[22:23], v[22:23], v[26:27], v[34:35]
	s_delay_alu instid0(VALU_DEP_2)
	v_div_fixup_f64 v[8:9], v[20:21], v[8:9], v[4:5]
	ds_load_b64 v[4:5], v37 offset:2096
	v_add_nc_u32_e32 v20, -16, v37
	ds_load_b64 v[20:21], v20
	v_div_fixup_f64 v[12:13], v[22:23], v[18:19], v[12:13]
	v_fma_f64 v[10:11], -v[8:9], v[10:11], v[6:7]
	s_waitcnt lgkmcnt(1)
	v_fma_f64 v[14:15], -v[8:9], v[4:5], v[14:15]
	v_add_nc_u32_e32 v4, 0x400, v38
	s_waitcnt lgkmcnt(0)
	v_mul_f64 v[8:9], v[8:9], -v[20:21]
	ds_load_2addr_b64 v[4:7], v4 offset0:6 offset1:138
	s_waitcnt lgkmcnt(0)
	s_barrier
	buffer_gl0_inv
	v_mul_f64 v[4:5], v[12:13], -v[4:5]
	v_fma_f64 v[10:11], -v[12:13], v[16:17], v[10:11]
	v_fma_f64 v[6:7], -v[12:13], v[6:7], v[14:15]
	v_max_u32_e32 v12, 4, v0
	ds_store_2addr_b64 v3, v[8:9], v[10:11] offset1:66
	ds_store_2addr_b64 v36, v[4:5], v[6:7] offset0:4 offset1:136
	v_lshlrev_b32_e32 v37, 3, v12
	s_waitcnt lgkmcnt(0)
	s_barrier
	buffer_gl0_inv
	ds_load_2addr_b64 v[4:7], v3 offset1:66
	ds_load_2addr_b64 v[8:11], v37 offset0:62 offset1:128
	v_min_u32_e32 v12, 59, v0
	s_delay_alu instid0(VALU_DEP_1)
	v_lshlrev_b32_e32 v38, 3, v12
	ds_load_2addr_b64 v[12:15], v36 offset0:4 offset1:136
	ds_load_2addr_b64 v[16:19], v38 offset0:4 offset1:70
	s_waitcnt lgkmcnt(2)
	v_div_scale_f64 v[20:21], null, v[8:9], v[8:9], v[4:5]
	v_div_scale_f64 v[32:33], vcc_lo, v[4:5], v[8:9], v[4:5]
	s_waitcnt lgkmcnt(0)
	v_div_scale_f64 v[22:23], null, v[18:19], v[18:19], v[12:13]
	s_delay_alu instid0(VALU_DEP_3) | instskip(NEXT) | instid1(VALU_DEP_1)
	v_rcp_f64_e32 v[24:25], v[20:21]
	v_rcp_f64_e32 v[26:27], v[22:23]
	s_waitcnt_depctr 0xfff
	v_fma_f64 v[28:29], -v[20:21], v[24:25], 1.0
	v_fma_f64 v[30:31], -v[22:23], v[26:27], 1.0
	s_delay_alu instid0(VALU_DEP_2) | instskip(NEXT) | instid1(VALU_DEP_2)
	v_fma_f64 v[24:25], v[24:25], v[28:29], v[24:25]
	v_fma_f64 v[26:27], v[26:27], v[30:31], v[26:27]
	s_delay_alu instid0(VALU_DEP_2) | instskip(NEXT) | instid1(VALU_DEP_2)
	v_fma_f64 v[28:29], -v[20:21], v[24:25], 1.0
	v_fma_f64 v[30:31], -v[22:23], v[26:27], 1.0
	s_delay_alu instid0(VALU_DEP_2) | instskip(SKIP_1) | instid1(VALU_DEP_3)
	v_fma_f64 v[24:25], v[24:25], v[28:29], v[24:25]
	v_div_scale_f64 v[28:29], s0, v[12:13], v[18:19], v[12:13]
	v_fma_f64 v[26:27], v[26:27], v[30:31], v[26:27]
	s_delay_alu instid0(VALU_DEP_3) | instskip(NEXT) | instid1(VALU_DEP_2)
	v_mul_f64 v[30:31], v[32:33], v[24:25]
	v_mul_f64 v[34:35], v[28:29], v[26:27]
	s_delay_alu instid0(VALU_DEP_2) | instskip(NEXT) | instid1(VALU_DEP_2)
	v_fma_f64 v[20:21], -v[20:21], v[30:31], v[32:33]
	v_fma_f64 v[22:23], -v[22:23], v[34:35], v[28:29]
	s_delay_alu instid0(VALU_DEP_2) | instskip(SKIP_1) | instid1(VALU_DEP_2)
	v_div_fmas_f64 v[20:21], v[20:21], v[24:25], v[30:31]
	s_mov_b32 vcc_lo, s0
	v_div_fmas_f64 v[22:23], v[22:23], v[26:27], v[34:35]
	s_delay_alu instid0(VALU_DEP_2)
	v_div_fixup_f64 v[8:9], v[20:21], v[8:9], v[4:5]
	ds_load_b64 v[4:5], v37 offset:2080
	v_subrev_nc_u32_e32 v20, 32, v37
	ds_load_b64 v[20:21], v20
	v_div_fixup_f64 v[12:13], v[22:23], v[18:19], v[12:13]
	v_fma_f64 v[10:11], -v[8:9], v[10:11], v[6:7]
	s_waitcnt lgkmcnt(1)
	v_fma_f64 v[14:15], -v[8:9], v[4:5], v[14:15]
	v_add_nc_u32_e32 v4, 0x400, v38
	s_waitcnt lgkmcnt(0)
	v_mul_f64 v[8:9], v[8:9], -v[20:21]
	ds_load_2addr_b64 v[4:7], v4 offset0:8 offset1:140
	s_waitcnt lgkmcnt(0)
	s_barrier
	buffer_gl0_inv
	v_mul_f64 v[4:5], v[12:13], -v[4:5]
	v_fma_f64 v[10:11], -v[12:13], v[16:17], v[10:11]
	v_fma_f64 v[6:7], -v[12:13], v[6:7], v[14:15]
	v_max_u32_e32 v12, 8, v0
	ds_store_2addr_b64 v3, v[8:9], v[10:11] offset1:66
	ds_store_2addr_b64 v36, v[4:5], v[6:7] offset0:4 offset1:136
	v_lshlrev_b32_e32 v37, 3, v12
	s_waitcnt lgkmcnt(0)
	s_barrier
	buffer_gl0_inv
	ds_load_2addr_b64 v[4:7], v3 offset1:66
	ds_load_2addr_b64 v[8:11], v37 offset0:58 offset1:124
	v_min_u32_e32 v12, 55, v0
	s_delay_alu instid0(VALU_DEP_1)
	v_lshlrev_b32_e32 v38, 3, v12
	ds_load_2addr_b64 v[12:15], v36 offset0:4 offset1:136
	ds_load_2addr_b64 v[16:19], v38 offset0:8 offset1:74
	s_waitcnt lgkmcnt(2)
	v_div_scale_f64 v[20:21], null, v[8:9], v[8:9], v[4:5]
	v_div_scale_f64 v[32:33], vcc_lo, v[4:5], v[8:9], v[4:5]
	s_waitcnt lgkmcnt(0)
	v_div_scale_f64 v[22:23], null, v[18:19], v[18:19], v[12:13]
	s_delay_alu instid0(VALU_DEP_3) | instskip(NEXT) | instid1(VALU_DEP_1)
	v_rcp_f64_e32 v[24:25], v[20:21]
	v_rcp_f64_e32 v[26:27], v[22:23]
	s_waitcnt_depctr 0xfff
	v_fma_f64 v[28:29], -v[20:21], v[24:25], 1.0
	v_fma_f64 v[30:31], -v[22:23], v[26:27], 1.0
	s_delay_alu instid0(VALU_DEP_2) | instskip(NEXT) | instid1(VALU_DEP_2)
	v_fma_f64 v[24:25], v[24:25], v[28:29], v[24:25]
	v_fma_f64 v[26:27], v[26:27], v[30:31], v[26:27]
	s_delay_alu instid0(VALU_DEP_2) | instskip(NEXT) | instid1(VALU_DEP_2)
	v_fma_f64 v[28:29], -v[20:21], v[24:25], 1.0
	v_fma_f64 v[30:31], -v[22:23], v[26:27], 1.0
	s_delay_alu instid0(VALU_DEP_2) | instskip(SKIP_1) | instid1(VALU_DEP_3)
	v_fma_f64 v[24:25], v[24:25], v[28:29], v[24:25]
	v_div_scale_f64 v[28:29], s0, v[12:13], v[18:19], v[12:13]
	v_fma_f64 v[26:27], v[26:27], v[30:31], v[26:27]
	s_delay_alu instid0(VALU_DEP_3) | instskip(NEXT) | instid1(VALU_DEP_2)
	v_mul_f64 v[30:31], v[32:33], v[24:25]
	v_mul_f64 v[34:35], v[28:29], v[26:27]
	s_delay_alu instid0(VALU_DEP_2) | instskip(NEXT) | instid1(VALU_DEP_2)
	v_fma_f64 v[20:21], -v[20:21], v[30:31], v[32:33]
	v_fma_f64 v[22:23], -v[22:23], v[34:35], v[28:29]
	s_delay_alu instid0(VALU_DEP_2) | instskip(SKIP_1) | instid1(VALU_DEP_2)
	v_div_fmas_f64 v[20:21], v[20:21], v[24:25], v[30:31]
	s_mov_b32 vcc_lo, s0
	v_div_fmas_f64 v[22:23], v[22:23], v[26:27], v[34:35]
	s_delay_alu instid0(VALU_DEP_2)
	v_div_fixup_f64 v[8:9], v[20:21], v[8:9], v[4:5]
	ds_load_b64 v[4:5], v37 offset:2048
	v_subrev_nc_u32_e32 v20, 64, v37
	ds_load_b64 v[20:21], v20
	v_div_fixup_f64 v[12:13], v[22:23], v[18:19], v[12:13]
	v_fma_f64 v[10:11], -v[8:9], v[10:11], v[6:7]
	s_waitcnt lgkmcnt(1)
	v_fma_f64 v[14:15], -v[8:9], v[4:5], v[14:15]
	v_add_nc_u32_e32 v4, 0x400, v38
	s_waitcnt lgkmcnt(0)
	v_mul_f64 v[8:9], v[8:9], -v[20:21]
	ds_load_2addr_b64 v[4:7], v4 offset0:12 offset1:144
	s_waitcnt lgkmcnt(0)
	s_barrier
	buffer_gl0_inv
	v_mul_f64 v[4:5], v[12:13], -v[4:5]
	v_fma_f64 v[10:11], -v[12:13], v[16:17], v[10:11]
	v_fma_f64 v[6:7], -v[12:13], v[6:7], v[14:15]
	v_max_u32_e32 v12, 16, v0
	ds_store_2addr_b64 v3, v[8:9], v[10:11] offset1:66
	ds_store_2addr_b64 v36, v[4:5], v[6:7] offset0:4 offset1:136
	v_lshlrev_b32_e32 v37, 3, v12
	s_waitcnt lgkmcnt(0)
	s_barrier
	buffer_gl0_inv
	ds_load_2addr_b64 v[4:7], v3 offset1:66
	ds_load_2addr_b64 v[8:11], v37 offset0:50 offset1:116
	v_min_u32_e32 v12, 47, v0
	s_delay_alu instid0(VALU_DEP_1)
	v_lshlrev_b32_e32 v38, 3, v12
	ds_load_2addr_b64 v[12:15], v36 offset0:4 offset1:136
	ds_load_2addr_b64 v[16:19], v38 offset0:16 offset1:82
	s_waitcnt lgkmcnt(2)
	v_div_scale_f64 v[20:21], null, v[8:9], v[8:9], v[4:5]
	v_div_scale_f64 v[32:33], vcc_lo, v[4:5], v[8:9], v[4:5]
	s_waitcnt lgkmcnt(0)
	v_div_scale_f64 v[22:23], null, v[18:19], v[18:19], v[12:13]
	s_delay_alu instid0(VALU_DEP_3) | instskip(NEXT) | instid1(VALU_DEP_1)
	v_rcp_f64_e32 v[24:25], v[20:21]
	v_rcp_f64_e32 v[26:27], v[22:23]
	s_waitcnt_depctr 0xfff
	v_fma_f64 v[28:29], -v[20:21], v[24:25], 1.0
	v_fma_f64 v[30:31], -v[22:23], v[26:27], 1.0
	s_delay_alu instid0(VALU_DEP_2) | instskip(NEXT) | instid1(VALU_DEP_2)
	v_fma_f64 v[24:25], v[24:25], v[28:29], v[24:25]
	v_fma_f64 v[26:27], v[26:27], v[30:31], v[26:27]
	s_delay_alu instid0(VALU_DEP_2) | instskip(NEXT) | instid1(VALU_DEP_2)
	v_fma_f64 v[28:29], -v[20:21], v[24:25], 1.0
	v_fma_f64 v[30:31], -v[22:23], v[26:27], 1.0
	s_delay_alu instid0(VALU_DEP_2) | instskip(SKIP_1) | instid1(VALU_DEP_3)
	v_fma_f64 v[24:25], v[24:25], v[28:29], v[24:25]
	v_div_scale_f64 v[28:29], s0, v[12:13], v[18:19], v[12:13]
	v_fma_f64 v[26:27], v[26:27], v[30:31], v[26:27]
	s_delay_alu instid0(VALU_DEP_3) | instskip(NEXT) | instid1(VALU_DEP_2)
	v_mul_f64 v[30:31], v[32:33], v[24:25]
	v_mul_f64 v[34:35], v[28:29], v[26:27]
	s_delay_alu instid0(VALU_DEP_2) | instskip(NEXT) | instid1(VALU_DEP_2)
	v_fma_f64 v[20:21], -v[20:21], v[30:31], v[32:33]
	v_fma_f64 v[22:23], -v[22:23], v[34:35], v[28:29]
	s_delay_alu instid0(VALU_DEP_2) | instskip(SKIP_2) | instid1(VALU_DEP_2)
	v_div_fmas_f64 v[20:21], v[20:21], v[24:25], v[30:31]
	s_mov_b32 vcc_lo, s0
	s_mov_b32 s0, exec_lo
	v_div_fmas_f64 v[22:23], v[22:23], v[26:27], v[34:35]
	s_delay_alu instid0(VALU_DEP_2)
	v_div_fixup_f64 v[8:9], v[20:21], v[8:9], v[4:5]
	ds_load_b64 v[4:5], v37 offset:1984
	v_add_nc_u32_e32 v20, 0xffffff80, v37
	ds_load_b64 v[20:21], v20
	v_div_fixup_f64 v[12:13], v[22:23], v[18:19], v[12:13]
	v_fma_f64 v[10:11], -v[8:9], v[10:11], v[6:7]
	s_waitcnt lgkmcnt(1)
	v_fma_f64 v[14:15], -v[8:9], v[4:5], v[14:15]
	v_add_nc_u32_e32 v4, 0x400, v38
	s_waitcnt lgkmcnt(0)
	v_mul_f64 v[8:9], v[8:9], -v[20:21]
	ds_load_2addr_b64 v[4:7], v4 offset0:20 offset1:152
	s_waitcnt lgkmcnt(0)
	s_barrier
	buffer_gl0_inv
	v_mul_f64 v[4:5], v[12:13], -v[4:5]
	v_fma_f64 v[10:11], -v[12:13], v[16:17], v[10:11]
	v_fma_f64 v[6:7], -v[12:13], v[6:7], v[14:15]
	ds_store_2addr_b64 v3, v[8:9], v[10:11] offset1:66
	ds_store_2addr_b64 v36, v[4:5], v[6:7] offset0:4 offset1:136
	s_waitcnt lgkmcnt(0)
	s_barrier
	buffer_gl0_inv
	v_cmpx_gt_u32_e32 32, v0
	s_cbranch_execz .LBB26_2
; %bb.1:
	v_add_nc_u32_e32 v0, 0x420, v3
	ds_load_b64 v[12:13], v0
	ds_load_b64 v[14:15], v3 offset:256
	v_add_nc_u32_e32 v0, 0x210, v3
	ds_load_2addr_b64 v[4:7], v0 offset1:32
	v_add_nc_u32_e32 v0, 0x840, v3
	s_waitcnt lgkmcnt(1)
	v_mul_f64 v[8:9], v[12:13], v[14:15]
	s_waitcnt lgkmcnt(0)
	s_delay_alu instid0(VALU_DEP_1) | instskip(NEXT) | instid1(VALU_DEP_1)
	v_fma_f64 v[16:17], v[6:7], v[4:5], -v[8:9]
	v_div_scale_f64 v[8:9], null, v[16:17], v[16:17], 1.0
	v_div_scale_f64 v[20:21], vcc_lo, 1.0, v[16:17], 1.0
	s_delay_alu instid0(VALU_DEP_2) | instskip(SKIP_2) | instid1(VALU_DEP_1)
	v_rcp_f64_e32 v[10:11], v[8:9]
	s_waitcnt_depctr 0xfff
	v_fma_f64 v[18:19], -v[8:9], v[10:11], 1.0
	v_fma_f64 v[10:11], v[10:11], v[18:19], v[10:11]
	s_delay_alu instid0(VALU_DEP_1) | instskip(NEXT) | instid1(VALU_DEP_1)
	v_fma_f64 v[18:19], -v[8:9], v[10:11], 1.0
	v_fma_f64 v[18:19], v[10:11], v[18:19], v[10:11]
	s_delay_alu instid0(VALU_DEP_1) | instskip(NEXT) | instid1(VALU_DEP_1)
	v_mul_f64 v[22:23], v[20:21], v[18:19]
	v_fma_f64 v[20:21], -v[8:9], v[22:23], v[20:21]
	ds_load_2addr_b64 v[8:11], v0 offset1:32
	s_waitcnt lgkmcnt(0)
	v_mul_f64 v[12:13], v[12:13], v[10:11]
	v_mul_f64 v[14:15], v[14:15], v[8:9]
	v_div_fmas_f64 v[18:19], v[20:21], v[18:19], v[22:23]
	s_delay_alu instid0(VALU_DEP_3) | instskip(NEXT) | instid1(VALU_DEP_3)
	v_fma_f64 v[6:7], v[6:7], v[8:9], -v[12:13]
	v_fma_f64 v[4:5], v[4:5], v[10:11], -v[14:15]
	s_delay_alu instid0(VALU_DEP_3) | instskip(NEXT) | instid1(VALU_DEP_1)
	v_div_fixup_f64 v[8:9], v[18:19], v[16:17], 1.0
	v_mul_f64 v[6:7], v[8:9], v[6:7]
	s_delay_alu instid0(VALU_DEP_3)
	v_mul_f64 v[4:5], v[8:9], v[4:5]
	ds_store_2addr_b64 v3, v[6:7], v[4:5] offset0:198 offset1:230
.LBB26_2:
	s_or_b32 exec_lo, exec_lo, s0
	s_waitcnt lgkmcnt(0)
	s_barrier
	buffer_gl0_inv
	ds_load_b64 v[3:4], v3 offset:1584
	s_waitcnt lgkmcnt(0)
	global_store_b64 v[1:2], v[3:4], off
	s_nop 0
	s_sendmsg sendmsg(MSG_DEALLOC_VGPRS)
	s_endpgm
	.section	.rodata,"a",@progbits
	.p2align	6, 0x0
	.amdhsa_kernel _ZN9rocsparseL49gtsv_nopivot_strided_batch_pcr_pow2_shared_kernelILj64EdEEviiiPKT0_S3_S3_PS1_
		.amdhsa_group_segment_fixed_size 2632
		.amdhsa_private_segment_fixed_size 0
		.amdhsa_kernarg_size 48
		.amdhsa_user_sgpr_count 15
		.amdhsa_user_sgpr_dispatch_ptr 0
		.amdhsa_user_sgpr_queue_ptr 0
		.amdhsa_user_sgpr_kernarg_segment_ptr 1
		.amdhsa_user_sgpr_dispatch_id 0
		.amdhsa_user_sgpr_private_segment_size 0
		.amdhsa_wavefront_size32 1
		.amdhsa_uses_dynamic_stack 0
		.amdhsa_enable_private_segment 0
		.amdhsa_system_sgpr_workgroup_id_x 1
		.amdhsa_system_sgpr_workgroup_id_y 0
		.amdhsa_system_sgpr_workgroup_id_z 0
		.amdhsa_system_sgpr_workgroup_info 0
		.amdhsa_system_vgpr_workitem_id 0
		.amdhsa_next_free_vgpr 39
		.amdhsa_next_free_sgpr 16
		.amdhsa_reserve_vcc 1
		.amdhsa_float_round_mode_32 0
		.amdhsa_float_round_mode_16_64 0
		.amdhsa_float_denorm_mode_32 3
		.amdhsa_float_denorm_mode_16_64 3
		.amdhsa_dx10_clamp 1
		.amdhsa_ieee_mode 1
		.amdhsa_fp16_overflow 0
		.amdhsa_workgroup_processor_mode 1
		.amdhsa_memory_ordered 1
		.amdhsa_forward_progress 0
		.amdhsa_shared_vgpr_count 0
		.amdhsa_exception_fp_ieee_invalid_op 0
		.amdhsa_exception_fp_denorm_src 0
		.amdhsa_exception_fp_ieee_div_zero 0
		.amdhsa_exception_fp_ieee_overflow 0
		.amdhsa_exception_fp_ieee_underflow 0
		.amdhsa_exception_fp_ieee_inexact 0
		.amdhsa_exception_int_div_zero 0
	.end_amdhsa_kernel
	.section	.text._ZN9rocsparseL49gtsv_nopivot_strided_batch_pcr_pow2_shared_kernelILj64EdEEviiiPKT0_S3_S3_PS1_,"axG",@progbits,_ZN9rocsparseL49gtsv_nopivot_strided_batch_pcr_pow2_shared_kernelILj64EdEEviiiPKT0_S3_S3_PS1_,comdat
.Lfunc_end26:
	.size	_ZN9rocsparseL49gtsv_nopivot_strided_batch_pcr_pow2_shared_kernelILj64EdEEviiiPKT0_S3_S3_PS1_, .Lfunc_end26-_ZN9rocsparseL49gtsv_nopivot_strided_batch_pcr_pow2_shared_kernelILj64EdEEviiiPKT0_S3_S3_PS1_
                                        ; -- End function
	.section	.AMDGPU.csdata,"",@progbits
; Kernel info:
; codeLenInByte = 2552
; NumSgprs: 18
; NumVgprs: 39
; ScratchSize: 0
; MemoryBound: 1
; FloatMode: 240
; IeeeMode: 1
; LDSByteSize: 2632 bytes/workgroup (compile time only)
; SGPRBlocks: 2
; VGPRBlocks: 4
; NumSGPRsForWavesPerEU: 18
; NumVGPRsForWavesPerEU: 39
; Occupancy: 16
; WaveLimiterHint : 1
; COMPUTE_PGM_RSRC2:SCRATCH_EN: 0
; COMPUTE_PGM_RSRC2:USER_SGPR: 15
; COMPUTE_PGM_RSRC2:TRAP_HANDLER: 0
; COMPUTE_PGM_RSRC2:TGID_X_EN: 1
; COMPUTE_PGM_RSRC2:TGID_Y_EN: 0
; COMPUTE_PGM_RSRC2:TGID_Z_EN: 0
; COMPUTE_PGM_RSRC2:TIDIG_COMP_CNT: 0
	.section	.text._ZN9rocsparseL51gtsv_nopivot_strided_batch_crpcr_pow2_shared_kernelILj64ELj64EdEEviiiPKT1_S3_S3_PS1_,"axG",@progbits,_ZN9rocsparseL51gtsv_nopivot_strided_batch_crpcr_pow2_shared_kernelILj64ELj64EdEEviiiPKT1_S3_S3_PS1_,comdat
	.globl	_ZN9rocsparseL51gtsv_nopivot_strided_batch_crpcr_pow2_shared_kernelILj64ELj64EdEEviiiPKT1_S3_S3_PS1_ ; -- Begin function _ZN9rocsparseL51gtsv_nopivot_strided_batch_crpcr_pow2_shared_kernelILj64ELj64EdEEviiiPKT1_S3_S3_PS1_
	.p2align	8
	.type	_ZN9rocsparseL51gtsv_nopivot_strided_batch_crpcr_pow2_shared_kernelILj64ELj64EdEEviiiPKT1_S3_S3_PS1_,@function
_ZN9rocsparseL51gtsv_nopivot_strided_batch_crpcr_pow2_shared_kernelILj64ELj64EdEEviiiPKT1_S3_S3_PS1_: ; @_ZN9rocsparseL51gtsv_nopivot_strided_batch_crpcr_pow2_shared_kernelILj64ELj64EdEEviiiPKT1_S3_S3_PS1_
; %bb.0:
	s_clause 0x1
	s_load_b32 s8, s[0:1], 0x8
	s_load_b256 s[0:7], s[0:1], 0x10
	s_waitcnt lgkmcnt(0)
	v_mad_u64_u32 v[1:2], null, s15, s8, v[0:1]
	s_delay_alu instid0(VALU_DEP_1) | instskip(SKIP_1) | instid1(VALU_DEP_2)
	v_dual_mov_b32 v4, 0 :: v_dual_add_nc_u32 v3, 64, v1
	v_ashrrev_i32_e32 v2, 31, v1
	v_lshlrev_b64 v[3:4], 3, v[3:4]
	s_delay_alu instid0(VALU_DEP_2) | instskip(NEXT) | instid1(VALU_DEP_1)
	v_lshlrev_b64 v[1:2], 3, v[1:2]
	v_add_co_u32 v5, vcc_lo, s0, v1
	s_delay_alu instid0(VALU_DEP_2) | instskip(NEXT) | instid1(VALU_DEP_4)
	v_add_co_ci_u32_e32 v6, vcc_lo, s1, v2, vcc_lo
	v_add_co_u32 v7, vcc_lo, s0, v3
	v_add_co_ci_u32_e32 v8, vcc_lo, s1, v4, vcc_lo
	v_add_co_u32 v9, vcc_lo, s2, v1
	;; [unrolled: 2-line block ×7, first 2 shown]
	v_add_co_ci_u32_e32 v4, vcc_lo, s7, v4, vcc_lo
	s_clause 0x1
	global_load_b64 v[5:6], v[5:6], off
	global_load_b64 v[7:8], v[7:8], off
	s_clause 0x1
	global_load_b64 v[9:10], v[9:10], off
	global_load_b64 v[11:12], v[11:12], off
	;; [unrolled: 3-line block ×4, first 2 shown]
	v_lshlrev_b32_e32 v13, 3, v0
	v_cmp_gt_u32_e64 s0, 64, v0
	v_lshlrev_b32_e32 v14, 1, v0
	s_waitcnt vmcnt(6)
	ds_store_2addr_stride64_b64 v13, v[5:6], v[7:8] offset1:1
	s_waitcnt vmcnt(4)
	ds_store_2addr_stride64_b64 v13, v[9:10], v[11:12] offset0:2 offset1:3
	s_waitcnt vmcnt(2)
	ds_store_2addr_stride64_b64 v13, v[17:18], v[15:16] offset0:4 offset1:5
	;; [unrolled: 2-line block ×3, first 2 shown]
	s_waitcnt lgkmcnt(0)
	s_barrier
	buffer_gl0_inv
	s_and_saveexec_b32 s2, s0
	s_cbranch_execz .LBB27_2
; %bb.1:
	v_or_b32_e32 v5, 0x400, v13
	v_add_nc_u32_e32 v43, v13, v13
	v_min_u32_e32 v15, 0x7d, v14
	v_or_b32_e32 v16, 0x800, v13
	v_or_b32_e32 v23, 0x1000, v13
	v_add_nc_u32_e32 v44, v5, v13
	ds_load_b128 v[5:8], v43
	ds_load_b128 v[9:12], v44
	v_lshlrev_b32_e32 v45, 3, v15
	v_add_nc_u32_e32 v46, v16, v13
	ds_load_2addr_b64 v[15:18], v45 offset0:2 offset1:130
	ds_load_b128 v[19:22], v46
	v_add_nc_u32_e32 v47, v23, v13
	ds_load_b128 v[23:26], v47
	s_waitcnt lgkmcnt(3)
	v_div_scale_f64 v[27:28], null, v[9:10], v[9:10], v[7:8]
	v_div_scale_f64 v[39:40], vcc_lo, v[7:8], v[9:10], v[7:8]
	s_waitcnt lgkmcnt(1)
	v_div_scale_f64 v[29:30], null, v[17:18], v[17:18], v[21:22]
	s_delay_alu instid0(VALU_DEP_3) | instskip(NEXT) | instid1(VALU_DEP_1)
	v_rcp_f64_e32 v[31:32], v[27:28]
	v_rcp_f64_e32 v[33:34], v[29:30]
	s_waitcnt_depctr 0xfff
	v_fma_f64 v[35:36], -v[27:28], v[31:32], 1.0
	v_fma_f64 v[37:38], -v[29:30], v[33:34], 1.0
	s_delay_alu instid0(VALU_DEP_2) | instskip(NEXT) | instid1(VALU_DEP_2)
	v_fma_f64 v[31:32], v[31:32], v[35:36], v[31:32]
	v_fma_f64 v[33:34], v[33:34], v[37:38], v[33:34]
	s_delay_alu instid0(VALU_DEP_2) | instskip(NEXT) | instid1(VALU_DEP_2)
	v_fma_f64 v[35:36], -v[27:28], v[31:32], 1.0
	v_fma_f64 v[37:38], -v[29:30], v[33:34], 1.0
	s_delay_alu instid0(VALU_DEP_2) | instskip(SKIP_1) | instid1(VALU_DEP_3)
	v_fma_f64 v[31:32], v[31:32], v[35:36], v[31:32]
	v_div_scale_f64 v[35:36], s1, v[21:22], v[17:18], v[21:22]
	v_fma_f64 v[33:34], v[33:34], v[37:38], v[33:34]
	s_delay_alu instid0(VALU_DEP_3) | instskip(NEXT) | instid1(VALU_DEP_2)
	v_mul_f64 v[37:38], v[39:40], v[31:32]
	v_mul_f64 v[41:42], v[35:36], v[33:34]
	s_delay_alu instid0(VALU_DEP_2) | instskip(NEXT) | instid1(VALU_DEP_2)
	v_fma_f64 v[27:28], -v[27:28], v[37:38], v[39:40]
	v_fma_f64 v[29:30], -v[29:30], v[41:42], v[35:36]
	s_delay_alu instid0(VALU_DEP_2) | instskip(SKIP_1) | instid1(VALU_DEP_2)
	v_div_fmas_f64 v[27:28], v[27:28], v[31:32], v[37:38]
	s_mov_b32 vcc_lo, s1
	v_div_fmas_f64 v[29:30], v[29:30], v[33:34], v[41:42]
	s_delay_alu instid0(VALU_DEP_2) | instskip(SKIP_1) | instid1(VALU_DEP_3)
	v_div_fixup_f64 v[27:28], v[27:28], v[9:10], v[7:8]
	v_add_nc_u32_e32 v7, 16, v45
	v_div_fixup_f64 v[17:18], v[29:30], v[17:18], v[21:22]
	ds_load_2addr_stride64_b64 v[7:10], v7 offset0:4 offset1:8
	v_fma_f64 v[11:12], -v[27:28], v[19:20], v[11:12]
	s_waitcnt lgkmcnt(1)
	v_fma_f64 v[19:20], -v[27:28], v[23:24], v[25:26]
	v_mul_f64 v[5:6], v[27:28], -v[5:6]
	s_waitcnt lgkmcnt(0)
	v_mul_f64 v[7:8], v[17:18], -v[7:8]
	s_delay_alu instid0(VALU_DEP_4) | instskip(NEXT) | instid1(VALU_DEP_4)
	v_fma_f64 v[11:12], -v[17:18], v[15:16], v[11:12]
	v_fma_f64 v[9:10], -v[17:18], v[9:10], v[19:20]
	ds_store_b64 v44, v[11:12] offset:8
	ds_store_b64 v43, v[5:6] offset:8
	;; [unrolled: 1-line block ×4, first 2 shown]
.LBB27_2:
	s_or_b32 exec_lo, exec_lo, s2
	v_lshlrev_b32_e32 v15, 4, v0
	s_waitcnt lgkmcnt(0)
	s_barrier
	buffer_gl0_inv
	s_and_saveexec_b32 s1, s0
	s_cbranch_execz .LBB27_4
; %bb.3:
	v_add_nc_u32_e32 v9, 8, v15
	ds_load_2addr_b64 v[5:8], v15 offset0:1 offset1:129
	ds_load_2addr_stride64_b64 v[9:12], v9 offset0:4 offset1:8
	s_waitcnt lgkmcnt(1)
	ds_store_2addr_stride64_b64 v13, v[5:6], v[7:8] offset0:10 offset1:11
	s_waitcnt lgkmcnt(1)
	ds_store_2addr_stride64_b64 v13, v[9:10], v[11:12] offset0:12 offset1:14
.LBB27_4:
	s_or_b32 exec_lo, exec_lo, s1
	v_or_b32_e32 v17, 0x1400, v13
	v_or_b32_e32 v19, 0x1800, v13
	;; [unrolled: 1-line block ×4, first 2 shown]
	s_waitcnt lgkmcnt(0)
	s_barrier
	buffer_gl0_inv
                                        ; implicit-def: $vgpr9_vgpr10
                                        ; implicit-def: $vgpr11_vgpr12
                                        ; implicit-def: $vgpr7_vgpr8
                                        ; implicit-def: $vgpr5_vgpr6
	s_and_saveexec_b32 s2, s0
	s_cbranch_execz .LBB27_6
; %bb.5:
	v_max_u32_e32 v5, 1, v0
	v_min_u32_e32 v9, 62, v0
	s_delay_alu instid0(VALU_DEP_2) | instskip(NEXT) | instid1(VALU_DEP_2)
	v_lshlrev_b32_e32 v5, 3, v5
	v_lshlrev_b32_e32 v9, 3, v9
	s_delay_alu instid0(VALU_DEP_2) | instskip(NEXT) | instid1(VALU_DEP_2)
	v_add_nc_u32_e32 v44, 0x1f8, v5
	v_add_nc_u32_e32 v45, 8, v9
	ds_load_2addr_stride64_b64 v[5:8], v44 offset0:9 offset1:10
	ds_load_b64 v[20:21], v17
	ds_load_b64 v[24:25], v19
	;; [unrolled: 1-line block ×4, first 2 shown]
	ds_load_2addr_stride64_b64 v[9:12], v45 offset0:10 offset1:11
	s_waitcnt lgkmcnt(4)
	v_div_scale_f64 v[22:23], null, v[7:8], v[7:8], v[20:21]
	v_div_scale_f64 v[40:41], vcc_lo, v[20:21], v[7:8], v[20:21]
	s_waitcnt lgkmcnt(0)
	v_div_scale_f64 v[30:31], null, v[11:12], v[11:12], v[24:25]
	s_delay_alu instid0(VALU_DEP_3) | instskip(NEXT) | instid1(VALU_DEP_1)
	v_rcp_f64_e32 v[32:33], v[22:23]
	v_rcp_f64_e32 v[34:35], v[30:31]
	s_waitcnt_depctr 0xfff
	v_fma_f64 v[36:37], -v[22:23], v[32:33], 1.0
	v_fma_f64 v[38:39], -v[30:31], v[34:35], 1.0
	s_delay_alu instid0(VALU_DEP_2) | instskip(NEXT) | instid1(VALU_DEP_2)
	v_fma_f64 v[32:33], v[32:33], v[36:37], v[32:33]
	v_fma_f64 v[34:35], v[34:35], v[38:39], v[34:35]
	s_delay_alu instid0(VALU_DEP_2) | instskip(NEXT) | instid1(VALU_DEP_2)
	v_fma_f64 v[36:37], -v[22:23], v[32:33], 1.0
	v_fma_f64 v[38:39], -v[30:31], v[34:35], 1.0
	s_delay_alu instid0(VALU_DEP_2) | instskip(SKIP_1) | instid1(VALU_DEP_3)
	v_fma_f64 v[32:33], v[32:33], v[36:37], v[32:33]
	v_div_scale_f64 v[36:37], s1, v[24:25], v[11:12], v[24:25]
	v_fma_f64 v[34:35], v[34:35], v[38:39], v[34:35]
	s_delay_alu instid0(VALU_DEP_3) | instskip(NEXT) | instid1(VALU_DEP_2)
	v_mul_f64 v[38:39], v[40:41], v[32:33]
	v_mul_f64 v[42:43], v[36:37], v[34:35]
	s_delay_alu instid0(VALU_DEP_2) | instskip(NEXT) | instid1(VALU_DEP_2)
	v_fma_f64 v[22:23], -v[22:23], v[38:39], v[40:41]
	v_fma_f64 v[30:31], -v[30:31], v[42:43], v[36:37]
	s_delay_alu instid0(VALU_DEP_2) | instskip(SKIP_1) | instid1(VALU_DEP_2)
	v_div_fmas_f64 v[22:23], v[22:23], v[32:33], v[38:39]
	s_mov_b32 vcc_lo, s1
	v_div_fmas_f64 v[30:31], v[30:31], v[34:35], v[42:43]
	s_delay_alu instid0(VALU_DEP_2)
	v_div_fixup_f64 v[7:8], v[22:23], v[7:8], v[20:21]
	ds_load_2addr_stride64_b64 v[20:23], v44 offset0:11 offset1:13
	v_div_fixup_f64 v[11:12], v[30:31], v[11:12], v[24:25]
	s_waitcnt lgkmcnt(0)
	v_fma_f64 v[24:25], -v[7:8], v[20:21], v[26:27]
	v_fma_f64 v[26:27], -v[7:8], v[22:23], v[28:29]
	ds_load_2addr_stride64_b64 v[20:23], v45 offset0:12 offset1:14
	v_mul_f64 v[5:6], v[7:8], -v[5:6]
	v_fma_f64 v[7:8], -v[11:12], v[9:10], v[24:25]
	s_waitcnt lgkmcnt(0)
	v_fma_f64 v[9:10], -v[11:12], v[22:23], v[26:27]
	v_mul_f64 v[11:12], v[11:12], -v[20:21]
.LBB27_6:
	s_or_b32 exec_lo, exec_lo, s2
	s_barrier
	buffer_gl0_inv
	s_and_saveexec_b32 s1, s0
	s_cbranch_execz .LBB27_8
; %bb.7:
	ds_store_b64 v16, v[9:10]
	ds_store_b64 v17, v[5:6]
	;; [unrolled: 1-line block ×4, first 2 shown]
.LBB27_8:
	s_or_b32 exec_lo, exec_lo, s1
	s_waitcnt lgkmcnt(0)
	s_barrier
	buffer_gl0_inv
	s_and_saveexec_b32 s2, s0
	s_cbranch_execz .LBB27_10
; %bb.9:
	v_max_u32_e32 v5, 2, v0
	v_min_u32_e32 v9, 61, v0
	s_delay_alu instid0(VALU_DEP_2) | instskip(NEXT) | instid1(VALU_DEP_2)
	v_lshlrev_b32_e32 v5, 3, v5
	v_lshlrev_b32_e32 v9, 3, v9
	s_delay_alu instid0(VALU_DEP_2) | instskip(NEXT) | instid1(VALU_DEP_2)
	v_add_nc_u32_e32 v44, 0x1f0, v5
	v_add_nc_u32_e32 v45, 16, v9
	ds_load_2addr_stride64_b64 v[5:8], v44 offset0:9 offset1:10
	ds_load_b64 v[20:21], v17
	ds_load_b64 v[24:25], v19
	;; [unrolled: 1-line block ×4, first 2 shown]
	ds_load_2addr_stride64_b64 v[9:12], v45 offset0:10 offset1:11
	s_waitcnt lgkmcnt(4)
	v_div_scale_f64 v[22:23], null, v[7:8], v[7:8], v[20:21]
	v_div_scale_f64 v[40:41], vcc_lo, v[20:21], v[7:8], v[20:21]
	s_waitcnt lgkmcnt(0)
	v_div_scale_f64 v[30:31], null, v[11:12], v[11:12], v[24:25]
	s_delay_alu instid0(VALU_DEP_3) | instskip(NEXT) | instid1(VALU_DEP_1)
	v_rcp_f64_e32 v[32:33], v[22:23]
	v_rcp_f64_e32 v[34:35], v[30:31]
	s_waitcnt_depctr 0xfff
	v_fma_f64 v[36:37], -v[22:23], v[32:33], 1.0
	v_fma_f64 v[38:39], -v[30:31], v[34:35], 1.0
	s_delay_alu instid0(VALU_DEP_2) | instskip(NEXT) | instid1(VALU_DEP_2)
	v_fma_f64 v[32:33], v[32:33], v[36:37], v[32:33]
	v_fma_f64 v[34:35], v[34:35], v[38:39], v[34:35]
	s_delay_alu instid0(VALU_DEP_2) | instskip(NEXT) | instid1(VALU_DEP_2)
	v_fma_f64 v[36:37], -v[22:23], v[32:33], 1.0
	v_fma_f64 v[38:39], -v[30:31], v[34:35], 1.0
	s_delay_alu instid0(VALU_DEP_2) | instskip(SKIP_1) | instid1(VALU_DEP_3)
	v_fma_f64 v[32:33], v[32:33], v[36:37], v[32:33]
	v_div_scale_f64 v[36:37], s1, v[24:25], v[11:12], v[24:25]
	v_fma_f64 v[34:35], v[34:35], v[38:39], v[34:35]
	s_delay_alu instid0(VALU_DEP_3) | instskip(NEXT) | instid1(VALU_DEP_2)
	v_mul_f64 v[38:39], v[40:41], v[32:33]
	v_mul_f64 v[42:43], v[36:37], v[34:35]
	s_delay_alu instid0(VALU_DEP_2) | instskip(NEXT) | instid1(VALU_DEP_2)
	v_fma_f64 v[22:23], -v[22:23], v[38:39], v[40:41]
	v_fma_f64 v[30:31], -v[30:31], v[42:43], v[36:37]
	s_delay_alu instid0(VALU_DEP_2) | instskip(SKIP_1) | instid1(VALU_DEP_2)
	v_div_fmas_f64 v[22:23], v[22:23], v[32:33], v[38:39]
	s_mov_b32 vcc_lo, s1
	v_div_fmas_f64 v[30:31], v[30:31], v[34:35], v[42:43]
	s_delay_alu instid0(VALU_DEP_2)
	v_div_fixup_f64 v[7:8], v[22:23], v[7:8], v[20:21]
	ds_load_2addr_stride64_b64 v[20:23], v44 offset0:11 offset1:13
	v_div_fixup_f64 v[11:12], v[30:31], v[11:12], v[24:25]
	s_waitcnt lgkmcnt(0)
	v_fma_f64 v[24:25], -v[7:8], v[20:21], v[26:27]
	v_fma_f64 v[26:27], -v[7:8], v[22:23], v[28:29]
	ds_load_2addr_stride64_b64 v[20:23], v45 offset0:12 offset1:14
	v_mul_f64 v[5:6], v[7:8], -v[5:6]
	v_fma_f64 v[7:8], -v[11:12], v[9:10], v[24:25]
	s_waitcnt lgkmcnt(0)
	v_fma_f64 v[9:10], -v[11:12], v[22:23], v[26:27]
	v_mul_f64 v[11:12], v[11:12], -v[20:21]
.LBB27_10:
	s_or_b32 exec_lo, exec_lo, s2
	s_barrier
	buffer_gl0_inv
	s_and_saveexec_b32 s1, s0
	s_cbranch_execz .LBB27_12
; %bb.11:
	ds_store_b64 v16, v[9:10]
	ds_store_b64 v17, v[5:6]
	;; [unrolled: 1-line block ×4, first 2 shown]
.LBB27_12:
	s_or_b32 exec_lo, exec_lo, s1
	s_waitcnt lgkmcnt(0)
	s_barrier
	buffer_gl0_inv
	s_and_saveexec_b32 s2, s0
	s_cbranch_execz .LBB27_14
; %bb.13:
	v_max_u32_e32 v5, 4, v0
	v_min_u32_e32 v9, 59, v0
	s_delay_alu instid0(VALU_DEP_2) | instskip(NEXT) | instid1(VALU_DEP_2)
	v_lshlrev_b32_e32 v5, 3, v5
	v_lshlrev_b32_e32 v9, 3, v9
	s_delay_alu instid0(VALU_DEP_2) | instskip(NEXT) | instid1(VALU_DEP_2)
	v_add_nc_u32_e32 v44, 0x1e0, v5
	v_add_nc_u32_e32 v45, 32, v9
	ds_load_2addr_stride64_b64 v[5:8], v44 offset0:9 offset1:10
	ds_load_b64 v[20:21], v17
	ds_load_b64 v[24:25], v19
	;; [unrolled: 1-line block ×4, first 2 shown]
	ds_load_2addr_stride64_b64 v[9:12], v45 offset0:10 offset1:11
	s_waitcnt lgkmcnt(4)
	v_div_scale_f64 v[22:23], null, v[7:8], v[7:8], v[20:21]
	v_div_scale_f64 v[40:41], vcc_lo, v[20:21], v[7:8], v[20:21]
	s_waitcnt lgkmcnt(0)
	v_div_scale_f64 v[30:31], null, v[11:12], v[11:12], v[24:25]
	s_delay_alu instid0(VALU_DEP_3) | instskip(NEXT) | instid1(VALU_DEP_1)
	v_rcp_f64_e32 v[32:33], v[22:23]
	v_rcp_f64_e32 v[34:35], v[30:31]
	s_waitcnt_depctr 0xfff
	v_fma_f64 v[36:37], -v[22:23], v[32:33], 1.0
	v_fma_f64 v[38:39], -v[30:31], v[34:35], 1.0
	s_delay_alu instid0(VALU_DEP_2) | instskip(NEXT) | instid1(VALU_DEP_2)
	v_fma_f64 v[32:33], v[32:33], v[36:37], v[32:33]
	v_fma_f64 v[34:35], v[34:35], v[38:39], v[34:35]
	s_delay_alu instid0(VALU_DEP_2) | instskip(NEXT) | instid1(VALU_DEP_2)
	v_fma_f64 v[36:37], -v[22:23], v[32:33], 1.0
	v_fma_f64 v[38:39], -v[30:31], v[34:35], 1.0
	s_delay_alu instid0(VALU_DEP_2) | instskip(SKIP_1) | instid1(VALU_DEP_3)
	v_fma_f64 v[32:33], v[32:33], v[36:37], v[32:33]
	v_div_scale_f64 v[36:37], s1, v[24:25], v[11:12], v[24:25]
	v_fma_f64 v[34:35], v[34:35], v[38:39], v[34:35]
	s_delay_alu instid0(VALU_DEP_3) | instskip(NEXT) | instid1(VALU_DEP_2)
	v_mul_f64 v[38:39], v[40:41], v[32:33]
	v_mul_f64 v[42:43], v[36:37], v[34:35]
	s_delay_alu instid0(VALU_DEP_2) | instskip(NEXT) | instid1(VALU_DEP_2)
	v_fma_f64 v[22:23], -v[22:23], v[38:39], v[40:41]
	v_fma_f64 v[30:31], -v[30:31], v[42:43], v[36:37]
	s_delay_alu instid0(VALU_DEP_2) | instskip(SKIP_1) | instid1(VALU_DEP_2)
	v_div_fmas_f64 v[22:23], v[22:23], v[32:33], v[38:39]
	s_mov_b32 vcc_lo, s1
	v_div_fmas_f64 v[30:31], v[30:31], v[34:35], v[42:43]
	s_delay_alu instid0(VALU_DEP_2)
	v_div_fixup_f64 v[7:8], v[22:23], v[7:8], v[20:21]
	ds_load_2addr_stride64_b64 v[20:23], v44 offset0:11 offset1:13
	v_div_fixup_f64 v[11:12], v[30:31], v[11:12], v[24:25]
	s_waitcnt lgkmcnt(0)
	v_fma_f64 v[24:25], -v[7:8], v[20:21], v[26:27]
	v_fma_f64 v[26:27], -v[7:8], v[22:23], v[28:29]
	ds_load_2addr_stride64_b64 v[20:23], v45 offset0:12 offset1:14
	v_mul_f64 v[5:6], v[7:8], -v[5:6]
	v_fma_f64 v[7:8], -v[11:12], v[9:10], v[24:25]
	s_waitcnt lgkmcnt(0)
	v_fma_f64 v[9:10], -v[11:12], v[22:23], v[26:27]
	v_mul_f64 v[11:12], v[11:12], -v[20:21]
.LBB27_14:
	s_or_b32 exec_lo, exec_lo, s2
	s_barrier
	buffer_gl0_inv
	s_and_saveexec_b32 s1, s0
	s_cbranch_execz .LBB27_16
; %bb.15:
	ds_store_b64 v16, v[9:10]
	ds_store_b64 v17, v[5:6]
	;; [unrolled: 1-line block ×4, first 2 shown]
.LBB27_16:
	s_or_b32 exec_lo, exec_lo, s1
	s_waitcnt lgkmcnt(0)
	s_barrier
	buffer_gl0_inv
	s_and_saveexec_b32 s2, s0
	s_cbranch_execz .LBB27_18
; %bb.17:
	v_max_u32_e32 v5, 8, v0
	v_min_u32_e32 v9, 55, v0
	s_delay_alu instid0(VALU_DEP_2) | instskip(NEXT) | instid1(VALU_DEP_2)
	v_lshlrev_b32_e32 v5, 3, v5
	v_lshlrev_b32_e32 v9, 3, v9
	s_delay_alu instid0(VALU_DEP_2) | instskip(NEXT) | instid1(VALU_DEP_2)
	v_add_nc_u32_e32 v44, 0x1c0, v5
	v_add_nc_u32_e32 v45, 64, v9
	ds_load_2addr_stride64_b64 v[5:8], v44 offset0:9 offset1:10
	ds_load_b64 v[20:21], v17
	ds_load_b64 v[24:25], v19
	;; [unrolled: 1-line block ×4, first 2 shown]
	ds_load_2addr_stride64_b64 v[9:12], v45 offset0:10 offset1:11
	s_waitcnt lgkmcnt(4)
	v_div_scale_f64 v[22:23], null, v[7:8], v[7:8], v[20:21]
	v_div_scale_f64 v[40:41], vcc_lo, v[20:21], v[7:8], v[20:21]
	s_waitcnt lgkmcnt(0)
	v_div_scale_f64 v[30:31], null, v[11:12], v[11:12], v[24:25]
	s_delay_alu instid0(VALU_DEP_3) | instskip(NEXT) | instid1(VALU_DEP_1)
	v_rcp_f64_e32 v[32:33], v[22:23]
	v_rcp_f64_e32 v[34:35], v[30:31]
	s_waitcnt_depctr 0xfff
	v_fma_f64 v[36:37], -v[22:23], v[32:33], 1.0
	v_fma_f64 v[38:39], -v[30:31], v[34:35], 1.0
	s_delay_alu instid0(VALU_DEP_2) | instskip(NEXT) | instid1(VALU_DEP_2)
	v_fma_f64 v[32:33], v[32:33], v[36:37], v[32:33]
	v_fma_f64 v[34:35], v[34:35], v[38:39], v[34:35]
	s_delay_alu instid0(VALU_DEP_2) | instskip(NEXT) | instid1(VALU_DEP_2)
	v_fma_f64 v[36:37], -v[22:23], v[32:33], 1.0
	v_fma_f64 v[38:39], -v[30:31], v[34:35], 1.0
	s_delay_alu instid0(VALU_DEP_2) | instskip(SKIP_1) | instid1(VALU_DEP_3)
	v_fma_f64 v[32:33], v[32:33], v[36:37], v[32:33]
	v_div_scale_f64 v[36:37], s1, v[24:25], v[11:12], v[24:25]
	v_fma_f64 v[34:35], v[34:35], v[38:39], v[34:35]
	s_delay_alu instid0(VALU_DEP_3) | instskip(NEXT) | instid1(VALU_DEP_2)
	v_mul_f64 v[38:39], v[40:41], v[32:33]
	v_mul_f64 v[42:43], v[36:37], v[34:35]
	s_delay_alu instid0(VALU_DEP_2) | instskip(NEXT) | instid1(VALU_DEP_2)
	v_fma_f64 v[22:23], -v[22:23], v[38:39], v[40:41]
	v_fma_f64 v[30:31], -v[30:31], v[42:43], v[36:37]
	s_delay_alu instid0(VALU_DEP_2) | instskip(SKIP_1) | instid1(VALU_DEP_2)
	v_div_fmas_f64 v[22:23], v[22:23], v[32:33], v[38:39]
	s_mov_b32 vcc_lo, s1
	v_div_fmas_f64 v[30:31], v[30:31], v[34:35], v[42:43]
	s_delay_alu instid0(VALU_DEP_2)
	v_div_fixup_f64 v[7:8], v[22:23], v[7:8], v[20:21]
	ds_load_2addr_stride64_b64 v[20:23], v44 offset0:11 offset1:13
	v_div_fixup_f64 v[11:12], v[30:31], v[11:12], v[24:25]
	s_waitcnt lgkmcnt(0)
	v_fma_f64 v[24:25], -v[7:8], v[20:21], v[26:27]
	v_fma_f64 v[26:27], -v[7:8], v[22:23], v[28:29]
	ds_load_2addr_stride64_b64 v[20:23], v45 offset0:12 offset1:14
	v_mul_f64 v[5:6], v[7:8], -v[5:6]
	v_fma_f64 v[7:8], -v[11:12], v[9:10], v[24:25]
	s_waitcnt lgkmcnt(0)
	v_fma_f64 v[9:10], -v[11:12], v[22:23], v[26:27]
	v_mul_f64 v[11:12], v[11:12], -v[20:21]
.LBB27_18:
	s_or_b32 exec_lo, exec_lo, s2
	s_barrier
	buffer_gl0_inv
	s_and_saveexec_b32 s1, s0
	s_cbranch_execz .LBB27_20
; %bb.19:
	ds_store_b64 v16, v[9:10]
	ds_store_b64 v17, v[5:6]
	;; [unrolled: 1-line block ×4, first 2 shown]
.LBB27_20:
	s_or_b32 exec_lo, exec_lo, s1
	s_waitcnt lgkmcnt(0)
	s_barrier
	buffer_gl0_inv
	s_and_saveexec_b32 s2, s0
	s_cbranch_execz .LBB27_22
; %bb.21:
	v_max_u32_e32 v5, 16, v0
	v_min_u32_e32 v9, 47, v0
	s_delay_alu instid0(VALU_DEP_2) | instskip(NEXT) | instid1(VALU_DEP_2)
	v_lshlrev_b32_e32 v5, 3, v5
	v_lshlrev_b32_e32 v9, 3, v9
	s_delay_alu instid0(VALU_DEP_2) | instskip(NEXT) | instid1(VALU_DEP_2)
	v_add_nc_u32_e32 v44, 0x180, v5
	v_add_nc_u32_e32 v45, 0x80, v9
	ds_load_2addr_stride64_b64 v[5:8], v44 offset0:9 offset1:10
	ds_load_b64 v[20:21], v17
	ds_load_b64 v[24:25], v19
	;; [unrolled: 1-line block ×4, first 2 shown]
	ds_load_2addr_stride64_b64 v[9:12], v45 offset0:10 offset1:11
	s_waitcnt lgkmcnt(4)
	v_div_scale_f64 v[22:23], null, v[7:8], v[7:8], v[20:21]
	v_div_scale_f64 v[40:41], vcc_lo, v[20:21], v[7:8], v[20:21]
	s_waitcnt lgkmcnt(0)
	v_div_scale_f64 v[30:31], null, v[11:12], v[11:12], v[24:25]
	s_delay_alu instid0(VALU_DEP_3) | instskip(NEXT) | instid1(VALU_DEP_1)
	v_rcp_f64_e32 v[32:33], v[22:23]
	v_rcp_f64_e32 v[34:35], v[30:31]
	s_waitcnt_depctr 0xfff
	v_fma_f64 v[36:37], -v[22:23], v[32:33], 1.0
	v_fma_f64 v[38:39], -v[30:31], v[34:35], 1.0
	s_delay_alu instid0(VALU_DEP_2) | instskip(NEXT) | instid1(VALU_DEP_2)
	v_fma_f64 v[32:33], v[32:33], v[36:37], v[32:33]
	v_fma_f64 v[34:35], v[34:35], v[38:39], v[34:35]
	s_delay_alu instid0(VALU_DEP_2) | instskip(NEXT) | instid1(VALU_DEP_2)
	v_fma_f64 v[36:37], -v[22:23], v[32:33], 1.0
	v_fma_f64 v[38:39], -v[30:31], v[34:35], 1.0
	s_delay_alu instid0(VALU_DEP_2) | instskip(SKIP_1) | instid1(VALU_DEP_3)
	v_fma_f64 v[32:33], v[32:33], v[36:37], v[32:33]
	v_div_scale_f64 v[36:37], s1, v[24:25], v[11:12], v[24:25]
	v_fma_f64 v[34:35], v[34:35], v[38:39], v[34:35]
	s_delay_alu instid0(VALU_DEP_3) | instskip(NEXT) | instid1(VALU_DEP_2)
	v_mul_f64 v[38:39], v[40:41], v[32:33]
	v_mul_f64 v[42:43], v[36:37], v[34:35]
	s_delay_alu instid0(VALU_DEP_2) | instskip(NEXT) | instid1(VALU_DEP_2)
	v_fma_f64 v[22:23], -v[22:23], v[38:39], v[40:41]
	v_fma_f64 v[30:31], -v[30:31], v[42:43], v[36:37]
	s_delay_alu instid0(VALU_DEP_2) | instskip(SKIP_1) | instid1(VALU_DEP_2)
	v_div_fmas_f64 v[22:23], v[22:23], v[32:33], v[38:39]
	s_mov_b32 vcc_lo, s1
	v_div_fmas_f64 v[30:31], v[30:31], v[34:35], v[42:43]
	s_delay_alu instid0(VALU_DEP_2)
	v_div_fixup_f64 v[7:8], v[22:23], v[7:8], v[20:21]
	ds_load_2addr_stride64_b64 v[20:23], v44 offset0:11 offset1:13
	v_div_fixup_f64 v[11:12], v[30:31], v[11:12], v[24:25]
	s_waitcnt lgkmcnt(0)
	v_fma_f64 v[24:25], -v[7:8], v[20:21], v[26:27]
	v_fma_f64 v[26:27], -v[7:8], v[22:23], v[28:29]
	ds_load_2addr_stride64_b64 v[20:23], v45 offset0:12 offset1:14
	v_mul_f64 v[5:6], v[7:8], -v[5:6]
	v_fma_f64 v[7:8], -v[11:12], v[9:10], v[24:25]
	s_waitcnt lgkmcnt(0)
	v_fma_f64 v[9:10], -v[11:12], v[22:23], v[26:27]
	v_mul_f64 v[11:12], v[11:12], -v[20:21]
.LBB27_22:
	s_or_b32 exec_lo, exec_lo, s2
	s_barrier
	buffer_gl0_inv
	s_and_saveexec_b32 s1, s0
	s_cbranch_execz .LBB27_24
; %bb.23:
	ds_store_b64 v16, v[9:10]
	ds_store_b64 v17, v[5:6]
	;; [unrolled: 1-line block ×4, first 2 shown]
.LBB27_24:
	s_or_b32 exec_lo, exec_lo, s1
	s_delay_alu instid0(SALU_CYCLE_1)
	s_mov_b32 s1, exec_lo
	s_waitcnt lgkmcnt(0)
	s_barrier
	buffer_gl0_inv
	v_cmpx_gt_u32_e32 32, v0
	s_cbranch_execz .LBB27_26
; %bb.25:
	ds_load_b64 v[19:20], v19
	ds_load_b64 v[21:22], v17 offset:256
	ds_load_2addr_b64 v[5:8], v18 offset1:32
	s_waitcnt lgkmcnt(1)
	v_mul_f64 v[9:10], v[19:20], v[21:22]
	s_waitcnt lgkmcnt(0)
	s_delay_alu instid0(VALU_DEP_1) | instskip(NEXT) | instid1(VALU_DEP_1)
	v_fma_f64 v[17:18], v[7:8], v[5:6], -v[9:10]
	v_div_scale_f64 v[9:10], null, v[17:18], v[17:18], 1.0
	v_div_scale_f64 v[25:26], vcc_lo, 1.0, v[17:18], 1.0
	s_delay_alu instid0(VALU_DEP_2) | instskip(SKIP_2) | instid1(VALU_DEP_1)
	v_rcp_f64_e32 v[11:12], v[9:10]
	s_waitcnt_depctr 0xfff
	v_fma_f64 v[23:24], -v[9:10], v[11:12], 1.0
	v_fma_f64 v[11:12], v[11:12], v[23:24], v[11:12]
	s_delay_alu instid0(VALU_DEP_1) | instskip(NEXT) | instid1(VALU_DEP_1)
	v_fma_f64 v[23:24], -v[9:10], v[11:12], 1.0
	v_fma_f64 v[23:24], v[11:12], v[23:24], v[11:12]
	s_delay_alu instid0(VALU_DEP_1) | instskip(NEXT) | instid1(VALU_DEP_1)
	v_mul_f64 v[27:28], v[25:26], v[23:24]
	v_fma_f64 v[25:26], -v[9:10], v[27:28], v[25:26]
	ds_load_2addr_b64 v[9:12], v16 offset1:32
	s_waitcnt lgkmcnt(0)
	v_mul_f64 v[19:20], v[19:20], v[11:12]
	v_mul_f64 v[21:22], v[21:22], v[9:10]
	v_div_fmas_f64 v[23:24], v[25:26], v[23:24], v[27:28]
	s_delay_alu instid0(VALU_DEP_3) | instskip(NEXT) | instid1(VALU_DEP_3)
	v_fma_f64 v[7:8], v[7:8], v[9:10], -v[19:20]
	v_fma_f64 v[5:6], v[5:6], v[11:12], -v[21:22]
	s_delay_alu instid0(VALU_DEP_3) | instskip(NEXT) | instid1(VALU_DEP_1)
	v_div_fixup_f64 v[9:10], v[23:24], v[17:18], 1.0
	v_mul_f64 v[7:8], v[9:10], v[7:8]
	s_delay_alu instid0(VALU_DEP_3)
	v_mul_f64 v[5:6], v[9:10], v[5:6]
	v_add_nc_u32_e32 v9, 0x1800, v13
	ds_store_2addr_b64 v9, v[7:8], v[5:6] offset0:64 offset1:96
.LBB27_26:
	s_or_b32 exec_lo, exec_lo, s1
	s_waitcnt lgkmcnt(0)
	s_barrier
	buffer_gl0_inv
	s_and_saveexec_b32 s1, s0
	s_cbranch_execz .LBB27_28
; %bb.27:
	ds_load_b64 v[5:6], v13 offset:6656
	s_waitcnt lgkmcnt(0)
	ds_store_b64 v15, v[5:6] offset:3080
.LBB27_28:
	s_or_b32 exec_lo, exec_lo, s1
	s_waitcnt lgkmcnt(0)
	s_barrier
	buffer_gl0_inv
	s_and_saveexec_b32 s1, s0
	s_cbranch_execz .LBB27_34
; %bb.29:
	v_cmp_ne_u32_e32 vcc_lo, 0, v0
	v_lshlrev_b32_e32 v0, 3, v14
                                        ; implicit-def: $vgpr5_vgpr6
	s_and_saveexec_b32 s0, vcc_lo
	s_delay_alu instid0(SALU_CYCLE_1)
	s_xor_b32 s0, exec_lo, s0
	s_cbranch_execz .LBB27_31
; %bb.30:
	s_delay_alu instid0(VALU_DEP_1)
	v_add_nc_u32_e32 v5, 0xa00, v0
	ds_load_2addr_b64 v[5:8], v5 offset0:63 offset1:192
	ds_load_b64 v[9:10], v0
	s_waitcnt lgkmcnt(0)
	v_fma_f64 v[5:6], -v[9:10], v[5:6], v[7:8]
.LBB27_31:
	s_and_not1_saveexec_b32 s0, s0
	s_cbranch_execz .LBB27_33
; %bb.32:
	ds_load_b64 v[5:6], v0 offset:4096
.LBB27_33:
	s_or_b32 exec_lo, exec_lo, s0
	ds_load_2addr_stride64_b64 v[7:10], v0 offset0:2 offset1:4
	ds_load_b64 v[11:12], v0 offset:3080
	s_waitcnt lgkmcnt(0)
	v_fma_f64 v[5:6], -v[9:10], v[11:12], v[5:6]
	s_delay_alu instid0(VALU_DEP_1) | instskip(NEXT) | instid1(VALU_DEP_1)
	v_div_scale_f64 v[9:10], null, v[7:8], v[7:8], v[5:6]
	v_rcp_f64_e32 v[11:12], v[9:10]
	s_waitcnt_depctr 0xfff
	v_fma_f64 v[14:15], -v[9:10], v[11:12], 1.0
	s_delay_alu instid0(VALU_DEP_1) | instskip(NEXT) | instid1(VALU_DEP_1)
	v_fma_f64 v[11:12], v[11:12], v[14:15], v[11:12]
	v_fma_f64 v[14:15], -v[9:10], v[11:12], 1.0
	s_delay_alu instid0(VALU_DEP_1) | instskip(SKIP_1) | instid1(VALU_DEP_1)
	v_fma_f64 v[11:12], v[11:12], v[14:15], v[11:12]
	v_div_scale_f64 v[14:15], vcc_lo, v[5:6], v[7:8], v[5:6]
	v_mul_f64 v[16:17], v[14:15], v[11:12]
	s_delay_alu instid0(VALU_DEP_1) | instskip(NEXT) | instid1(VALU_DEP_1)
	v_fma_f64 v[9:10], -v[9:10], v[16:17], v[14:15]
	v_div_fmas_f64 v[9:10], v[9:10], v[11:12], v[16:17]
	s_delay_alu instid0(VALU_DEP_1)
	v_div_fixup_f64 v[5:6], v[9:10], v[7:8], v[5:6]
	ds_store_b64 v0, v[5:6] offset:3072
.LBB27_34:
	s_or_b32 exec_lo, exec_lo, s1
	s_waitcnt lgkmcnt(0)
	s_barrier
	buffer_gl0_inv
	ds_load_2addr_stride64_b64 v[5:8], v13 offset0:6 offset1:7
	s_waitcnt lgkmcnt(0)
	s_clause 0x1
	global_store_b64 v[1:2], v[5:6], off
	global_store_b64 v[3:4], v[7:8], off
	s_nop 0
	s_sendmsg sendmsg(MSG_DEALLOC_VGPRS)
	s_endpgm
	.section	.rodata,"a",@progbits
	.p2align	6, 0x0
	.amdhsa_kernel _ZN9rocsparseL51gtsv_nopivot_strided_batch_crpcr_pow2_shared_kernelILj64ELj64EdEEviiiPKT1_S3_S3_PS1_
		.amdhsa_group_segment_fixed_size 7680
		.amdhsa_private_segment_fixed_size 0
		.amdhsa_kernarg_size 48
		.amdhsa_user_sgpr_count 15
		.amdhsa_user_sgpr_dispatch_ptr 0
		.amdhsa_user_sgpr_queue_ptr 0
		.amdhsa_user_sgpr_kernarg_segment_ptr 1
		.amdhsa_user_sgpr_dispatch_id 0
		.amdhsa_user_sgpr_private_segment_size 0
		.amdhsa_wavefront_size32 1
		.amdhsa_uses_dynamic_stack 0
		.amdhsa_enable_private_segment 0
		.amdhsa_system_sgpr_workgroup_id_x 1
		.amdhsa_system_sgpr_workgroup_id_y 0
		.amdhsa_system_sgpr_workgroup_id_z 0
		.amdhsa_system_sgpr_workgroup_info 0
		.amdhsa_system_vgpr_workitem_id 0
		.amdhsa_next_free_vgpr 48
		.amdhsa_next_free_sgpr 16
		.amdhsa_reserve_vcc 1
		.amdhsa_float_round_mode_32 0
		.amdhsa_float_round_mode_16_64 0
		.amdhsa_float_denorm_mode_32 3
		.amdhsa_float_denorm_mode_16_64 3
		.amdhsa_dx10_clamp 1
		.amdhsa_ieee_mode 1
		.amdhsa_fp16_overflow 0
		.amdhsa_workgroup_processor_mode 1
		.amdhsa_memory_ordered 1
		.amdhsa_forward_progress 0
		.amdhsa_shared_vgpr_count 0
		.amdhsa_exception_fp_ieee_invalid_op 0
		.amdhsa_exception_fp_denorm_src 0
		.amdhsa_exception_fp_ieee_div_zero 0
		.amdhsa_exception_fp_ieee_overflow 0
		.amdhsa_exception_fp_ieee_underflow 0
		.amdhsa_exception_fp_ieee_inexact 0
		.amdhsa_exception_int_div_zero 0
	.end_amdhsa_kernel
	.section	.text._ZN9rocsparseL51gtsv_nopivot_strided_batch_crpcr_pow2_shared_kernelILj64ELj64EdEEviiiPKT1_S3_S3_PS1_,"axG",@progbits,_ZN9rocsparseL51gtsv_nopivot_strided_batch_crpcr_pow2_shared_kernelILj64ELj64EdEEviiiPKT1_S3_S3_PS1_,comdat
.Lfunc_end27:
	.size	_ZN9rocsparseL51gtsv_nopivot_strided_batch_crpcr_pow2_shared_kernelILj64ELj64EdEEviiiPKT1_S3_S3_PS1_, .Lfunc_end27-_ZN9rocsparseL51gtsv_nopivot_strided_batch_crpcr_pow2_shared_kernelILj64ELj64EdEEviiiPKT1_S3_S3_PS1_
                                        ; -- End function
	.section	.AMDGPU.csdata,"",@progbits
; Kernel info:
; codeLenInByte = 3784
; NumSgprs: 18
; NumVgprs: 48
; ScratchSize: 0
; MemoryBound: 0
; FloatMode: 240
; IeeeMode: 1
; LDSByteSize: 7680 bytes/workgroup (compile time only)
; SGPRBlocks: 2
; VGPRBlocks: 5
; NumSGPRsForWavesPerEU: 18
; NumVGPRsForWavesPerEU: 48
; Occupancy: 9
; WaveLimiterHint : 0
; COMPUTE_PGM_RSRC2:SCRATCH_EN: 0
; COMPUTE_PGM_RSRC2:USER_SGPR: 15
; COMPUTE_PGM_RSRC2:TRAP_HANDLER: 0
; COMPUTE_PGM_RSRC2:TGID_X_EN: 1
; COMPUTE_PGM_RSRC2:TGID_Y_EN: 0
; COMPUTE_PGM_RSRC2:TGID_Z_EN: 0
; COMPUTE_PGM_RSRC2:TIDIG_COMP_CNT: 0
	.section	.text._ZN9rocsparseL51gtsv_nopivot_strided_batch_crpcr_pow2_shared_kernelILj128ELj64EdEEviiiPKT1_S3_S3_PS1_,"axG",@progbits,_ZN9rocsparseL51gtsv_nopivot_strided_batch_crpcr_pow2_shared_kernelILj128ELj64EdEEviiiPKT1_S3_S3_PS1_,comdat
	.globl	_ZN9rocsparseL51gtsv_nopivot_strided_batch_crpcr_pow2_shared_kernelILj128ELj64EdEEviiiPKT1_S3_S3_PS1_ ; -- Begin function _ZN9rocsparseL51gtsv_nopivot_strided_batch_crpcr_pow2_shared_kernelILj128ELj64EdEEviiiPKT1_S3_S3_PS1_
	.p2align	8
	.type	_ZN9rocsparseL51gtsv_nopivot_strided_batch_crpcr_pow2_shared_kernelILj128ELj64EdEEviiiPKT1_S3_S3_PS1_,@function
_ZN9rocsparseL51gtsv_nopivot_strided_batch_crpcr_pow2_shared_kernelILj128ELj64EdEEviiiPKT1_S3_S3_PS1_: ; @_ZN9rocsparseL51gtsv_nopivot_strided_batch_crpcr_pow2_shared_kernelILj128ELj64EdEEviiiPKT1_S3_S3_PS1_
; %bb.0:
	s_clause 0x1
	s_load_b32 s8, s[0:1], 0x8
	s_load_b256 s[0:7], s[0:1], 0x10
	v_add_nc_u32_e32 v19, 1, v0
	s_waitcnt lgkmcnt(0)
	v_mad_u64_u32 v[1:2], null, s15, s8, v[0:1]
	s_delay_alu instid0(VALU_DEP_1) | instskip(SKIP_1) | instid1(VALU_DEP_2)
	v_dual_mov_b32 v4, 0 :: v_dual_add_nc_u32 v3, 0x80, v1
	v_ashrrev_i32_e32 v2, 31, v1
	v_lshlrev_b64 v[3:4], 3, v[3:4]
	s_delay_alu instid0(VALU_DEP_2) | instskip(NEXT) | instid1(VALU_DEP_1)
	v_lshlrev_b64 v[1:2], 3, v[1:2]
	v_add_co_u32 v5, vcc_lo, s0, v1
	s_delay_alu instid0(VALU_DEP_2) | instskip(NEXT) | instid1(VALU_DEP_4)
	v_add_co_ci_u32_e32 v6, vcc_lo, s1, v2, vcc_lo
	v_add_co_u32 v7, vcc_lo, s0, v3
	v_add_co_ci_u32_e32 v8, vcc_lo, s1, v4, vcc_lo
	v_add_co_u32 v9, vcc_lo, s2, v1
	;; [unrolled: 2-line block ×7, first 2 shown]
	v_add_co_ci_u32_e32 v4, vcc_lo, s7, v4, vcc_lo
	s_clause 0x1
	global_load_b64 v[5:6], v[5:6], off
	global_load_b64 v[7:8], v[7:8], off
	s_clause 0x1
	global_load_b64 v[9:10], v[9:10], off
	global_load_b64 v[11:12], v[11:12], off
	;; [unrolled: 3-line block ×4, first 2 shown]
	v_lshlrev_b32_e32 v13, 3, v0
	v_cmp_gt_u32_e64 s0, 0x80, v0
	s_waitcnt vmcnt(6)
	ds_store_2addr_stride64_b64 v13, v[5:6], v[7:8] offset1:2
	s_waitcnt vmcnt(4)
	ds_store_2addr_stride64_b64 v13, v[9:10], v[11:12] offset0:4 offset1:6
	s_waitcnt vmcnt(2)
	ds_store_2addr_stride64_b64 v13, v[17:18], v[14:15] offset0:8 offset1:10
	;; [unrolled: 2-line block ×3, first 2 shown]
	s_waitcnt lgkmcnt(0)
	s_barrier
	buffer_gl0_inv
	s_and_saveexec_b32 s2, s0
	s_cbranch_execz .LBB28_2
; %bb.1:
	v_lshlrev_b32_e32 v18, 4, v19
	v_lshlrev_b32_e32 v24, 1, v19
	s_delay_alu instid0(VALU_DEP_2) | instskip(NEXT) | instid1(VALU_DEP_2)
	v_add_nc_u32_e32 v5, -16, v18
	v_min_u32_e32 v24, 0xff, v24
	ds_load_b128 v[5:8], v5
	ds_load_b128 v[9:12], v18 offset:2032
	ds_load_b128 v[14:17], v18 offset:4080
	;; [unrolled: 1-line block ×3, first 2 shown]
	v_lshlrev_b32_e32 v44, 3, v24
	ds_load_2addr_stride64_b64 v[24:27], v44 offset1:4
	s_waitcnt lgkmcnt(3)
	v_div_scale_f64 v[28:29], null, v[9:10], v[9:10], v[7:8]
	v_div_scale_f64 v[40:41], vcc_lo, v[7:8], v[9:10], v[7:8]
	s_waitcnt lgkmcnt(0)
	v_div_scale_f64 v[30:31], null, v[26:27], v[26:27], v[16:17]
	s_delay_alu instid0(VALU_DEP_3) | instskip(NEXT) | instid1(VALU_DEP_1)
	v_rcp_f64_e32 v[32:33], v[28:29]
	v_rcp_f64_e32 v[34:35], v[30:31]
	s_waitcnt_depctr 0xfff
	v_fma_f64 v[36:37], -v[28:29], v[32:33], 1.0
	v_fma_f64 v[38:39], -v[30:31], v[34:35], 1.0
	s_delay_alu instid0(VALU_DEP_2) | instskip(NEXT) | instid1(VALU_DEP_2)
	v_fma_f64 v[32:33], v[32:33], v[36:37], v[32:33]
	v_fma_f64 v[34:35], v[34:35], v[38:39], v[34:35]
	s_delay_alu instid0(VALU_DEP_2) | instskip(NEXT) | instid1(VALU_DEP_2)
	v_fma_f64 v[36:37], -v[28:29], v[32:33], 1.0
	v_fma_f64 v[38:39], -v[30:31], v[34:35], 1.0
	s_delay_alu instid0(VALU_DEP_2) | instskip(SKIP_1) | instid1(VALU_DEP_3)
	v_fma_f64 v[32:33], v[32:33], v[36:37], v[32:33]
	v_div_scale_f64 v[36:37], s1, v[16:17], v[26:27], v[16:17]
	v_fma_f64 v[34:35], v[34:35], v[38:39], v[34:35]
	s_delay_alu instid0(VALU_DEP_3) | instskip(NEXT) | instid1(VALU_DEP_2)
	v_mul_f64 v[38:39], v[40:41], v[32:33]
	v_mul_f64 v[42:43], v[36:37], v[34:35]
	s_delay_alu instid0(VALU_DEP_2) | instskip(NEXT) | instid1(VALU_DEP_2)
	v_fma_f64 v[28:29], -v[28:29], v[38:39], v[40:41]
	v_fma_f64 v[30:31], -v[30:31], v[42:43], v[36:37]
	s_delay_alu instid0(VALU_DEP_2) | instskip(SKIP_1) | instid1(VALU_DEP_2)
	v_div_fmas_f64 v[28:29], v[28:29], v[32:33], v[38:39]
	s_mov_b32 vcc_lo, s1
	v_div_fmas_f64 v[30:31], v[30:31], v[34:35], v[42:43]
	s_delay_alu instid0(VALU_DEP_2)
	v_div_fixup_f64 v[28:29], v[28:29], v[9:10], v[7:8]
	ds_load_2addr_stride64_b64 v[7:10], v44 offset0:8 offset1:16
	v_div_fixup_f64 v[16:17], v[30:31], v[26:27], v[16:17]
	v_fma_f64 v[20:21], -v[28:29], v[20:21], v[22:23]
	v_fma_f64 v[11:12], -v[28:29], v[14:15], v[11:12]
	v_mul_f64 v[5:6], v[28:29], -v[5:6]
	v_add_nc_u32_e32 v14, -8, v18
	v_add_nc_u32_e32 v15, 0x1f8, v18
	s_waitcnt lgkmcnt(0)
	v_mul_f64 v[7:8], v[16:17], -v[7:8]
	v_fma_f64 v[9:10], -v[16:17], v[9:10], v[20:21]
	v_fma_f64 v[11:12], -v[16:17], v[24:25], v[11:12]
	ds_store_b64 v18, v[9:10] offset:8184
	ds_store_b64 v14, v[5:6]
	ds_store_2addr_stride64_b64 v15, v[11:12], v[7:8] offset0:3 offset1:7
.LBB28_2:
	s_or_b32 exec_lo, exec_lo, s2
	v_cmp_gt_u32_e64 s1, 64, v0
	v_lshlrev_b32_e32 v14, 5, v19
	s_waitcnt lgkmcnt(0)
	s_barrier
	buffer_gl0_inv
	s_and_saveexec_b32 s3, s1
	s_cbranch_execz .LBB28_4
; %bb.3:
	v_add_nc_u32_e32 v40, -8, v14
	v_subrev_nc_u32_e32 v9, 24, v14
	v_add_nc_u32_e32 v10, 0x800, v14
	ds_load_2addr_b64 v[5:8], v14 offset0:253 offset1:255
	ds_load_b64 v[20:21], v40
	ds_load_b64 v[24:25], v9
	v_lshl_or_b32 v9, v19, 2, 1
	s_delay_alu instid0(VALU_DEP_1) | instskip(NEXT) | instid1(VALU_DEP_1)
	v_min_u32_e32 v9, 0xff, v9
	v_lshlrev_b32_e32 v41, 3, v9
	ds_load_2addr_b64 v[9:12], v10 offset0:253 offset1:255
	ds_load_2addr_stride64_b64 v[15:18], v41 offset1:4
	s_waitcnt lgkmcnt(3)
	v_div_scale_f64 v[22:23], null, v[5:6], v[5:6], v[20:21]
	v_div_scale_f64 v[36:37], vcc_lo, v[20:21], v[5:6], v[20:21]
	s_waitcnt lgkmcnt(0)
	v_div_scale_f64 v[26:27], null, v[17:18], v[17:18], v[11:12]
	s_delay_alu instid0(VALU_DEP_3) | instskip(NEXT) | instid1(VALU_DEP_1)
	v_rcp_f64_e32 v[28:29], v[22:23]
	v_rcp_f64_e32 v[30:31], v[26:27]
	s_waitcnt_depctr 0xfff
	v_fma_f64 v[32:33], -v[22:23], v[28:29], 1.0
	v_fma_f64 v[34:35], -v[26:27], v[30:31], 1.0
	s_delay_alu instid0(VALU_DEP_2) | instskip(NEXT) | instid1(VALU_DEP_2)
	v_fma_f64 v[28:29], v[28:29], v[32:33], v[28:29]
	v_fma_f64 v[30:31], v[30:31], v[34:35], v[30:31]
	s_delay_alu instid0(VALU_DEP_2) | instskip(NEXT) | instid1(VALU_DEP_2)
	v_fma_f64 v[32:33], -v[22:23], v[28:29], 1.0
	v_fma_f64 v[34:35], -v[26:27], v[30:31], 1.0
	s_delay_alu instid0(VALU_DEP_2) | instskip(SKIP_1) | instid1(VALU_DEP_3)
	v_fma_f64 v[28:29], v[28:29], v[32:33], v[28:29]
	v_div_scale_f64 v[32:33], s2, v[11:12], v[17:18], v[11:12]
	v_fma_f64 v[30:31], v[30:31], v[34:35], v[30:31]
	s_delay_alu instid0(VALU_DEP_3) | instskip(NEXT) | instid1(VALU_DEP_2)
	v_mul_f64 v[34:35], v[36:37], v[28:29]
	v_mul_f64 v[38:39], v[32:33], v[30:31]
	s_delay_alu instid0(VALU_DEP_2) | instskip(NEXT) | instid1(VALU_DEP_2)
	v_fma_f64 v[22:23], -v[22:23], v[34:35], v[36:37]
	v_fma_f64 v[26:27], -v[26:27], v[38:39], v[32:33]
	s_delay_alu instid0(VALU_DEP_2) | instskip(SKIP_1) | instid1(VALU_DEP_2)
	v_div_fmas_f64 v[22:23], v[22:23], v[28:29], v[34:35]
	s_mov_b32 vcc_lo, s2
	v_div_fmas_f64 v[26:27], v[26:27], v[30:31], v[38:39]
	s_delay_alu instid0(VALU_DEP_2)
	v_div_fixup_f64 v[28:29], v[22:23], v[5:6], v[20:21]
	v_add_nc_u32_e32 v5, 0x1800, v14
	ds_load_2addr_b64 v[20:23], v5 offset0:253 offset1:255
	v_div_fixup_f64 v[11:12], v[26:27], v[17:18], v[11:12]
	s_waitcnt lgkmcnt(0)
	v_fma_f64 v[17:18], -v[28:29], v[20:21], v[22:23]
	v_fma_f64 v[9:10], -v[28:29], v[9:10], v[7:8]
	ds_load_2addr_stride64_b64 v[5:8], v41 offset0:8 offset1:16
	v_mul_f64 v[20:21], v[28:29], -v[24:25]
	s_waitcnt lgkmcnt(0)
	v_mul_f64 v[5:6], v[11:12], -v[5:6]
	v_fma_f64 v[7:8], -v[11:12], v[7:8], v[17:18]
	v_fma_f64 v[9:10], -v[11:12], v[15:16], v[9:10]
	v_add_nc_u32_e32 v11, 0x1f8, v14
	ds_store_b64 v14, v[7:8] offset:8184
	ds_store_b64 v40, v[20:21]
	ds_store_2addr_stride64_b64 v11, v[9:10], v[5:6] offset0:3 offset1:7
.LBB28_4:
	s_or_b32 exec_lo, exec_lo, s3
	s_waitcnt lgkmcnt(0)
	s_barrier
	buffer_gl0_inv
	s_and_saveexec_b32 s2, s1
	s_cbranch_execz .LBB28_6
; %bb.5:
	v_add_nc_u32_e32 v5, 0x1f8, v14
	v_add_nc_u32_e32 v9, -8, v14
	ds_load_2addr_stride64_b64 v[5:8], v5 offset0:3 offset1:7
	ds_load_b64 v[9:10], v9
	ds_load_b64 v[11:12], v14 offset:8184
	s_waitcnt lgkmcnt(1)
	ds_store_2addr_stride64_b64 v13, v[9:10], v[5:6] offset0:20 offset1:21
	s_waitcnt lgkmcnt(1)
	ds_store_2addr_stride64_b64 v13, v[7:8], v[11:12] offset0:22 offset1:24
.LBB28_6:
	s_or_b32 exec_lo, exec_lo, s2
	v_or_b32_e32 v16, 0x2800, v13
	v_or_b32_e32 v18, 0x2c00, v13
	v_add_nc_u32_e32 v17, 0x2a00, v13
	v_or_b32_e32 v15, 0x3000, v13
	s_waitcnt lgkmcnt(0)
	s_barrier
	buffer_gl0_inv
                                        ; implicit-def: $vgpr9_vgpr10
                                        ; implicit-def: $vgpr11_vgpr12
                                        ; implicit-def: $vgpr7_vgpr8
                                        ; implicit-def: $vgpr5_vgpr6
	s_and_saveexec_b32 s3, s1
	s_cbranch_execz .LBB28_8
; %bb.7:
	v_max_u32_e32 v5, 1, v0
	v_min_u32_e32 v9, 63, v19
	s_delay_alu instid0(VALU_DEP_2) | instskip(NEXT) | instid1(VALU_DEP_2)
	v_lshlrev_b32_e32 v5, 3, v5
	v_lshlrev_b32_e32 v45, 3, v9
	s_delay_alu instid0(VALU_DEP_2)
	v_add_nc_u32_e32 v22, 0x1f8, v5
	ds_load_2addr_stride64_b64 v[5:8], v22 offset0:19 offset1:20
	ds_load_b64 v[20:21], v16
	ds_load_b64 v[23:24], v18
	;; [unrolled: 1-line block ×4, first 2 shown]
	ds_load_2addr_stride64_b64 v[9:12], v45 offset0:20 offset1:21
	s_waitcnt lgkmcnt(4)
	v_div_scale_f64 v[29:30], null, v[7:8], v[7:8], v[20:21]
	v_div_scale_f64 v[41:42], vcc_lo, v[20:21], v[7:8], v[20:21]
	s_waitcnt lgkmcnt(0)
	v_div_scale_f64 v[31:32], null, v[11:12], v[11:12], v[23:24]
	s_delay_alu instid0(VALU_DEP_3) | instskip(NEXT) | instid1(VALU_DEP_1)
	v_rcp_f64_e32 v[33:34], v[29:30]
	v_rcp_f64_e32 v[35:36], v[31:32]
	s_waitcnt_depctr 0xfff
	v_fma_f64 v[37:38], -v[29:30], v[33:34], 1.0
	v_fma_f64 v[39:40], -v[31:32], v[35:36], 1.0
	s_delay_alu instid0(VALU_DEP_2) | instskip(NEXT) | instid1(VALU_DEP_2)
	v_fma_f64 v[33:34], v[33:34], v[37:38], v[33:34]
	v_fma_f64 v[35:36], v[35:36], v[39:40], v[35:36]
	s_delay_alu instid0(VALU_DEP_2) | instskip(NEXT) | instid1(VALU_DEP_2)
	v_fma_f64 v[37:38], -v[29:30], v[33:34], 1.0
	v_fma_f64 v[39:40], -v[31:32], v[35:36], 1.0
	s_delay_alu instid0(VALU_DEP_2) | instskip(SKIP_1) | instid1(VALU_DEP_3)
	v_fma_f64 v[33:34], v[33:34], v[37:38], v[33:34]
	v_div_scale_f64 v[37:38], s2, v[23:24], v[11:12], v[23:24]
	v_fma_f64 v[35:36], v[35:36], v[39:40], v[35:36]
	s_delay_alu instid0(VALU_DEP_3) | instskip(NEXT) | instid1(VALU_DEP_2)
	v_mul_f64 v[39:40], v[41:42], v[33:34]
	v_mul_f64 v[43:44], v[37:38], v[35:36]
	s_delay_alu instid0(VALU_DEP_2) | instskip(NEXT) | instid1(VALU_DEP_2)
	v_fma_f64 v[29:30], -v[29:30], v[39:40], v[41:42]
	v_fma_f64 v[31:32], -v[31:32], v[43:44], v[37:38]
	s_delay_alu instid0(VALU_DEP_2) | instskip(SKIP_1) | instid1(VALU_DEP_2)
	v_div_fmas_f64 v[29:30], v[29:30], v[33:34], v[39:40]
	s_mov_b32 vcc_lo, s2
	v_div_fmas_f64 v[31:32], v[31:32], v[35:36], v[43:44]
	s_delay_alu instid0(VALU_DEP_2)
	v_div_fixup_f64 v[7:8], v[29:30], v[7:8], v[20:21]
	ds_load_2addr_stride64_b64 v[19:22], v22 offset0:21 offset1:23
	v_div_fixup_f64 v[11:12], v[31:32], v[11:12], v[23:24]
	s_waitcnt lgkmcnt(0)
	v_fma_f64 v[23:24], -v[7:8], v[19:20], v[25:26]
	v_fma_f64 v[25:26], -v[7:8], v[21:22], v[27:28]
	ds_load_2addr_stride64_b64 v[19:22], v45 offset0:22 offset1:24
	v_mul_f64 v[5:6], v[7:8], -v[5:6]
	v_fma_f64 v[7:8], -v[11:12], v[9:10], v[23:24]
	s_waitcnt lgkmcnt(0)
	v_fma_f64 v[9:10], -v[11:12], v[21:22], v[25:26]
	v_mul_f64 v[11:12], v[11:12], -v[19:20]
.LBB28_8:
	s_or_b32 exec_lo, exec_lo, s3
	s_barrier
	buffer_gl0_inv
	s_and_saveexec_b32 s2, s1
	s_cbranch_execz .LBB28_10
; %bb.9:
	ds_store_b64 v15, v[9:10]
	ds_store_b64 v16, v[5:6]
	;; [unrolled: 1-line block ×4, first 2 shown]
.LBB28_10:
	s_or_b32 exec_lo, exec_lo, s2
	s_waitcnt lgkmcnt(0)
	s_barrier
	buffer_gl0_inv
	s_and_saveexec_b32 s3, s1
	s_cbranch_execz .LBB28_12
; %bb.11:
	v_max_u32_e32 v5, 2, v0
	v_min_u32_e32 v9, 61, v0
	s_delay_alu instid0(VALU_DEP_2) | instskip(NEXT) | instid1(VALU_DEP_2)
	v_lshlrev_b32_e32 v5, 3, v5
	v_lshlrev_b32_e32 v9, 3, v9
	s_delay_alu instid0(VALU_DEP_2) | instskip(NEXT) | instid1(VALU_DEP_2)
	v_add_nc_u32_e32 v43, 0x1f0, v5
	v_add_nc_u32_e32 v44, 16, v9
	ds_load_2addr_stride64_b64 v[5:8], v43 offset0:19 offset1:20
	ds_load_b64 v[19:20], v16
	ds_load_b64 v[23:24], v18
	;; [unrolled: 1-line block ×4, first 2 shown]
	ds_load_2addr_stride64_b64 v[9:12], v44 offset0:20 offset1:21
	s_waitcnt lgkmcnt(4)
	v_div_scale_f64 v[21:22], null, v[7:8], v[7:8], v[19:20]
	v_div_scale_f64 v[39:40], vcc_lo, v[19:20], v[7:8], v[19:20]
	s_waitcnt lgkmcnt(0)
	v_div_scale_f64 v[29:30], null, v[11:12], v[11:12], v[23:24]
	s_delay_alu instid0(VALU_DEP_3) | instskip(NEXT) | instid1(VALU_DEP_1)
	v_rcp_f64_e32 v[31:32], v[21:22]
	v_rcp_f64_e32 v[33:34], v[29:30]
	s_waitcnt_depctr 0xfff
	v_fma_f64 v[35:36], -v[21:22], v[31:32], 1.0
	v_fma_f64 v[37:38], -v[29:30], v[33:34], 1.0
	s_delay_alu instid0(VALU_DEP_2) | instskip(NEXT) | instid1(VALU_DEP_2)
	v_fma_f64 v[31:32], v[31:32], v[35:36], v[31:32]
	v_fma_f64 v[33:34], v[33:34], v[37:38], v[33:34]
	s_delay_alu instid0(VALU_DEP_2) | instskip(NEXT) | instid1(VALU_DEP_2)
	v_fma_f64 v[35:36], -v[21:22], v[31:32], 1.0
	v_fma_f64 v[37:38], -v[29:30], v[33:34], 1.0
	s_delay_alu instid0(VALU_DEP_2) | instskip(SKIP_1) | instid1(VALU_DEP_3)
	v_fma_f64 v[31:32], v[31:32], v[35:36], v[31:32]
	v_div_scale_f64 v[35:36], s2, v[23:24], v[11:12], v[23:24]
	v_fma_f64 v[33:34], v[33:34], v[37:38], v[33:34]
	s_delay_alu instid0(VALU_DEP_3) | instskip(NEXT) | instid1(VALU_DEP_2)
	v_mul_f64 v[37:38], v[39:40], v[31:32]
	v_mul_f64 v[41:42], v[35:36], v[33:34]
	s_delay_alu instid0(VALU_DEP_2) | instskip(NEXT) | instid1(VALU_DEP_2)
	v_fma_f64 v[21:22], -v[21:22], v[37:38], v[39:40]
	v_fma_f64 v[29:30], -v[29:30], v[41:42], v[35:36]
	s_delay_alu instid0(VALU_DEP_2) | instskip(SKIP_1) | instid1(VALU_DEP_2)
	v_div_fmas_f64 v[21:22], v[21:22], v[31:32], v[37:38]
	s_mov_b32 vcc_lo, s2
	v_div_fmas_f64 v[29:30], v[29:30], v[33:34], v[41:42]
	s_delay_alu instid0(VALU_DEP_2)
	v_div_fixup_f64 v[7:8], v[21:22], v[7:8], v[19:20]
	ds_load_2addr_stride64_b64 v[19:22], v43 offset0:21 offset1:23
	v_div_fixup_f64 v[11:12], v[29:30], v[11:12], v[23:24]
	s_waitcnt lgkmcnt(0)
	v_fma_f64 v[23:24], -v[7:8], v[19:20], v[25:26]
	v_fma_f64 v[25:26], -v[7:8], v[21:22], v[27:28]
	ds_load_2addr_stride64_b64 v[19:22], v44 offset0:22 offset1:24
	v_mul_f64 v[5:6], v[7:8], -v[5:6]
	v_fma_f64 v[7:8], -v[11:12], v[9:10], v[23:24]
	s_waitcnt lgkmcnt(0)
	v_fma_f64 v[9:10], -v[11:12], v[21:22], v[25:26]
	v_mul_f64 v[11:12], v[11:12], -v[19:20]
.LBB28_12:
	s_or_b32 exec_lo, exec_lo, s3
	s_barrier
	buffer_gl0_inv
	s_and_saveexec_b32 s2, s1
	s_cbranch_execz .LBB28_14
; %bb.13:
	ds_store_b64 v15, v[9:10]
	ds_store_b64 v16, v[5:6]
	;; [unrolled: 1-line block ×4, first 2 shown]
.LBB28_14:
	s_or_b32 exec_lo, exec_lo, s2
	s_waitcnt lgkmcnt(0)
	s_barrier
	buffer_gl0_inv
	s_and_saveexec_b32 s3, s1
	s_cbranch_execz .LBB28_16
; %bb.15:
	v_max_u32_e32 v5, 4, v0
	v_min_u32_e32 v9, 59, v0
	s_delay_alu instid0(VALU_DEP_2) | instskip(NEXT) | instid1(VALU_DEP_2)
	v_lshlrev_b32_e32 v5, 3, v5
	v_lshlrev_b32_e32 v9, 3, v9
	s_delay_alu instid0(VALU_DEP_2) | instskip(NEXT) | instid1(VALU_DEP_2)
	v_add_nc_u32_e32 v43, 0x1e0, v5
	v_add_nc_u32_e32 v44, 32, v9
	ds_load_2addr_stride64_b64 v[5:8], v43 offset0:19 offset1:20
	ds_load_b64 v[19:20], v16
	ds_load_b64 v[23:24], v18
	;; [unrolled: 1-line block ×4, first 2 shown]
	ds_load_2addr_stride64_b64 v[9:12], v44 offset0:20 offset1:21
	s_waitcnt lgkmcnt(4)
	v_div_scale_f64 v[21:22], null, v[7:8], v[7:8], v[19:20]
	v_div_scale_f64 v[39:40], vcc_lo, v[19:20], v[7:8], v[19:20]
	s_waitcnt lgkmcnt(0)
	v_div_scale_f64 v[29:30], null, v[11:12], v[11:12], v[23:24]
	s_delay_alu instid0(VALU_DEP_3) | instskip(NEXT) | instid1(VALU_DEP_1)
	v_rcp_f64_e32 v[31:32], v[21:22]
	v_rcp_f64_e32 v[33:34], v[29:30]
	s_waitcnt_depctr 0xfff
	v_fma_f64 v[35:36], -v[21:22], v[31:32], 1.0
	v_fma_f64 v[37:38], -v[29:30], v[33:34], 1.0
	s_delay_alu instid0(VALU_DEP_2) | instskip(NEXT) | instid1(VALU_DEP_2)
	v_fma_f64 v[31:32], v[31:32], v[35:36], v[31:32]
	v_fma_f64 v[33:34], v[33:34], v[37:38], v[33:34]
	s_delay_alu instid0(VALU_DEP_2) | instskip(NEXT) | instid1(VALU_DEP_2)
	v_fma_f64 v[35:36], -v[21:22], v[31:32], 1.0
	v_fma_f64 v[37:38], -v[29:30], v[33:34], 1.0
	s_delay_alu instid0(VALU_DEP_2) | instskip(SKIP_1) | instid1(VALU_DEP_3)
	v_fma_f64 v[31:32], v[31:32], v[35:36], v[31:32]
	v_div_scale_f64 v[35:36], s2, v[23:24], v[11:12], v[23:24]
	v_fma_f64 v[33:34], v[33:34], v[37:38], v[33:34]
	s_delay_alu instid0(VALU_DEP_3) | instskip(NEXT) | instid1(VALU_DEP_2)
	v_mul_f64 v[37:38], v[39:40], v[31:32]
	v_mul_f64 v[41:42], v[35:36], v[33:34]
	s_delay_alu instid0(VALU_DEP_2) | instskip(NEXT) | instid1(VALU_DEP_2)
	v_fma_f64 v[21:22], -v[21:22], v[37:38], v[39:40]
	v_fma_f64 v[29:30], -v[29:30], v[41:42], v[35:36]
	s_delay_alu instid0(VALU_DEP_2) | instskip(SKIP_1) | instid1(VALU_DEP_2)
	v_div_fmas_f64 v[21:22], v[21:22], v[31:32], v[37:38]
	s_mov_b32 vcc_lo, s2
	v_div_fmas_f64 v[29:30], v[29:30], v[33:34], v[41:42]
	s_delay_alu instid0(VALU_DEP_2)
	v_div_fixup_f64 v[7:8], v[21:22], v[7:8], v[19:20]
	ds_load_2addr_stride64_b64 v[19:22], v43 offset0:21 offset1:23
	v_div_fixup_f64 v[11:12], v[29:30], v[11:12], v[23:24]
	s_waitcnt lgkmcnt(0)
	v_fma_f64 v[23:24], -v[7:8], v[19:20], v[25:26]
	v_fma_f64 v[25:26], -v[7:8], v[21:22], v[27:28]
	ds_load_2addr_stride64_b64 v[19:22], v44 offset0:22 offset1:24
	v_mul_f64 v[5:6], v[7:8], -v[5:6]
	v_fma_f64 v[7:8], -v[11:12], v[9:10], v[23:24]
	s_waitcnt lgkmcnt(0)
	v_fma_f64 v[9:10], -v[11:12], v[21:22], v[25:26]
	v_mul_f64 v[11:12], v[11:12], -v[19:20]
.LBB28_16:
	s_or_b32 exec_lo, exec_lo, s3
	s_barrier
	buffer_gl0_inv
	s_and_saveexec_b32 s2, s1
	s_cbranch_execz .LBB28_18
; %bb.17:
	ds_store_b64 v15, v[9:10]
	ds_store_b64 v16, v[5:6]
	;; [unrolled: 1-line block ×4, first 2 shown]
.LBB28_18:
	s_or_b32 exec_lo, exec_lo, s2
	s_waitcnt lgkmcnt(0)
	s_barrier
	buffer_gl0_inv
	s_and_saveexec_b32 s3, s1
	s_cbranch_execz .LBB28_20
; %bb.19:
	v_max_u32_e32 v5, 8, v0
	v_min_u32_e32 v9, 55, v0
	s_delay_alu instid0(VALU_DEP_2) | instskip(NEXT) | instid1(VALU_DEP_2)
	v_lshlrev_b32_e32 v5, 3, v5
	v_lshlrev_b32_e32 v9, 3, v9
	s_delay_alu instid0(VALU_DEP_2) | instskip(NEXT) | instid1(VALU_DEP_2)
	v_add_nc_u32_e32 v43, 0x1c0, v5
	v_add_nc_u32_e32 v44, 64, v9
	ds_load_2addr_stride64_b64 v[5:8], v43 offset0:19 offset1:20
	ds_load_b64 v[19:20], v16
	ds_load_b64 v[23:24], v18
	;; [unrolled: 1-line block ×4, first 2 shown]
	ds_load_2addr_stride64_b64 v[9:12], v44 offset0:20 offset1:21
	s_waitcnt lgkmcnt(4)
	v_div_scale_f64 v[21:22], null, v[7:8], v[7:8], v[19:20]
	v_div_scale_f64 v[39:40], vcc_lo, v[19:20], v[7:8], v[19:20]
	s_waitcnt lgkmcnt(0)
	v_div_scale_f64 v[29:30], null, v[11:12], v[11:12], v[23:24]
	s_delay_alu instid0(VALU_DEP_3) | instskip(NEXT) | instid1(VALU_DEP_1)
	v_rcp_f64_e32 v[31:32], v[21:22]
	v_rcp_f64_e32 v[33:34], v[29:30]
	s_waitcnt_depctr 0xfff
	v_fma_f64 v[35:36], -v[21:22], v[31:32], 1.0
	v_fma_f64 v[37:38], -v[29:30], v[33:34], 1.0
	s_delay_alu instid0(VALU_DEP_2) | instskip(NEXT) | instid1(VALU_DEP_2)
	v_fma_f64 v[31:32], v[31:32], v[35:36], v[31:32]
	v_fma_f64 v[33:34], v[33:34], v[37:38], v[33:34]
	s_delay_alu instid0(VALU_DEP_2) | instskip(NEXT) | instid1(VALU_DEP_2)
	v_fma_f64 v[35:36], -v[21:22], v[31:32], 1.0
	v_fma_f64 v[37:38], -v[29:30], v[33:34], 1.0
	s_delay_alu instid0(VALU_DEP_2) | instskip(SKIP_1) | instid1(VALU_DEP_3)
	v_fma_f64 v[31:32], v[31:32], v[35:36], v[31:32]
	v_div_scale_f64 v[35:36], s2, v[23:24], v[11:12], v[23:24]
	v_fma_f64 v[33:34], v[33:34], v[37:38], v[33:34]
	s_delay_alu instid0(VALU_DEP_3) | instskip(NEXT) | instid1(VALU_DEP_2)
	v_mul_f64 v[37:38], v[39:40], v[31:32]
	v_mul_f64 v[41:42], v[35:36], v[33:34]
	s_delay_alu instid0(VALU_DEP_2) | instskip(NEXT) | instid1(VALU_DEP_2)
	v_fma_f64 v[21:22], -v[21:22], v[37:38], v[39:40]
	v_fma_f64 v[29:30], -v[29:30], v[41:42], v[35:36]
	s_delay_alu instid0(VALU_DEP_2) | instskip(SKIP_1) | instid1(VALU_DEP_2)
	v_div_fmas_f64 v[21:22], v[21:22], v[31:32], v[37:38]
	s_mov_b32 vcc_lo, s2
	v_div_fmas_f64 v[29:30], v[29:30], v[33:34], v[41:42]
	s_delay_alu instid0(VALU_DEP_2)
	v_div_fixup_f64 v[7:8], v[21:22], v[7:8], v[19:20]
	ds_load_2addr_stride64_b64 v[19:22], v43 offset0:21 offset1:23
	v_div_fixup_f64 v[11:12], v[29:30], v[11:12], v[23:24]
	s_waitcnt lgkmcnt(0)
	v_fma_f64 v[23:24], -v[7:8], v[19:20], v[25:26]
	v_fma_f64 v[25:26], -v[7:8], v[21:22], v[27:28]
	ds_load_2addr_stride64_b64 v[19:22], v44 offset0:22 offset1:24
	v_mul_f64 v[5:6], v[7:8], -v[5:6]
	v_fma_f64 v[7:8], -v[11:12], v[9:10], v[23:24]
	s_waitcnt lgkmcnt(0)
	v_fma_f64 v[9:10], -v[11:12], v[21:22], v[25:26]
	v_mul_f64 v[11:12], v[11:12], -v[19:20]
.LBB28_20:
	s_or_b32 exec_lo, exec_lo, s3
	s_barrier
	buffer_gl0_inv
	s_and_saveexec_b32 s2, s1
	s_cbranch_execz .LBB28_22
; %bb.21:
	ds_store_b64 v15, v[9:10]
	ds_store_b64 v16, v[5:6]
	;; [unrolled: 1-line block ×4, first 2 shown]
.LBB28_22:
	s_or_b32 exec_lo, exec_lo, s2
	s_waitcnt lgkmcnt(0)
	s_barrier
	buffer_gl0_inv
	s_and_saveexec_b32 s3, s1
	s_cbranch_execz .LBB28_24
; %bb.23:
	v_max_u32_e32 v5, 16, v0
	v_min_u32_e32 v9, 47, v0
	s_delay_alu instid0(VALU_DEP_2) | instskip(NEXT) | instid1(VALU_DEP_2)
	v_lshlrev_b32_e32 v5, 3, v5
	v_lshlrev_b32_e32 v9, 3, v9
	s_delay_alu instid0(VALU_DEP_2) | instskip(NEXT) | instid1(VALU_DEP_2)
	v_add_nc_u32_e32 v43, 0x180, v5
	v_add_nc_u32_e32 v44, 0x80, v9
	ds_load_2addr_stride64_b64 v[5:8], v43 offset0:19 offset1:20
	ds_load_b64 v[19:20], v16
	ds_load_b64 v[23:24], v18
	;; [unrolled: 1-line block ×4, first 2 shown]
	ds_load_2addr_stride64_b64 v[9:12], v44 offset0:20 offset1:21
	s_waitcnt lgkmcnt(4)
	v_div_scale_f64 v[21:22], null, v[7:8], v[7:8], v[19:20]
	v_div_scale_f64 v[39:40], vcc_lo, v[19:20], v[7:8], v[19:20]
	s_waitcnt lgkmcnt(0)
	v_div_scale_f64 v[29:30], null, v[11:12], v[11:12], v[23:24]
	s_delay_alu instid0(VALU_DEP_3) | instskip(NEXT) | instid1(VALU_DEP_1)
	v_rcp_f64_e32 v[31:32], v[21:22]
	v_rcp_f64_e32 v[33:34], v[29:30]
	s_waitcnt_depctr 0xfff
	v_fma_f64 v[35:36], -v[21:22], v[31:32], 1.0
	v_fma_f64 v[37:38], -v[29:30], v[33:34], 1.0
	s_delay_alu instid0(VALU_DEP_2) | instskip(NEXT) | instid1(VALU_DEP_2)
	v_fma_f64 v[31:32], v[31:32], v[35:36], v[31:32]
	v_fma_f64 v[33:34], v[33:34], v[37:38], v[33:34]
	s_delay_alu instid0(VALU_DEP_2) | instskip(NEXT) | instid1(VALU_DEP_2)
	v_fma_f64 v[35:36], -v[21:22], v[31:32], 1.0
	v_fma_f64 v[37:38], -v[29:30], v[33:34], 1.0
	s_delay_alu instid0(VALU_DEP_2) | instskip(SKIP_1) | instid1(VALU_DEP_3)
	v_fma_f64 v[31:32], v[31:32], v[35:36], v[31:32]
	v_div_scale_f64 v[35:36], s2, v[23:24], v[11:12], v[23:24]
	v_fma_f64 v[33:34], v[33:34], v[37:38], v[33:34]
	s_delay_alu instid0(VALU_DEP_3) | instskip(NEXT) | instid1(VALU_DEP_2)
	v_mul_f64 v[37:38], v[39:40], v[31:32]
	v_mul_f64 v[41:42], v[35:36], v[33:34]
	s_delay_alu instid0(VALU_DEP_2) | instskip(NEXT) | instid1(VALU_DEP_2)
	v_fma_f64 v[21:22], -v[21:22], v[37:38], v[39:40]
	v_fma_f64 v[29:30], -v[29:30], v[41:42], v[35:36]
	s_delay_alu instid0(VALU_DEP_2) | instskip(SKIP_1) | instid1(VALU_DEP_2)
	v_div_fmas_f64 v[21:22], v[21:22], v[31:32], v[37:38]
	s_mov_b32 vcc_lo, s2
	v_div_fmas_f64 v[29:30], v[29:30], v[33:34], v[41:42]
	s_delay_alu instid0(VALU_DEP_2)
	v_div_fixup_f64 v[7:8], v[21:22], v[7:8], v[19:20]
	ds_load_2addr_stride64_b64 v[19:22], v43 offset0:21 offset1:23
	v_div_fixup_f64 v[11:12], v[29:30], v[11:12], v[23:24]
	s_waitcnt lgkmcnt(0)
	v_fma_f64 v[23:24], -v[7:8], v[19:20], v[25:26]
	v_fma_f64 v[25:26], -v[7:8], v[21:22], v[27:28]
	ds_load_2addr_stride64_b64 v[19:22], v44 offset0:22 offset1:24
	v_mul_f64 v[5:6], v[7:8], -v[5:6]
	v_fma_f64 v[7:8], -v[11:12], v[9:10], v[23:24]
	s_waitcnt lgkmcnt(0)
	v_fma_f64 v[9:10], -v[11:12], v[21:22], v[25:26]
	v_mul_f64 v[11:12], v[11:12], -v[19:20]
.LBB28_24:
	s_or_b32 exec_lo, exec_lo, s3
	s_barrier
	buffer_gl0_inv
	s_and_saveexec_b32 s2, s1
	s_cbranch_execz .LBB28_26
; %bb.25:
	ds_store_b64 v15, v[9:10]
	ds_store_b64 v16, v[5:6]
	;; [unrolled: 1-line block ×4, first 2 shown]
.LBB28_26:
	s_or_b32 exec_lo, exec_lo, s2
	s_delay_alu instid0(SALU_CYCLE_1)
	s_mov_b32 s2, exec_lo
	s_waitcnt lgkmcnt(0)
	s_barrier
	buffer_gl0_inv
	v_cmpx_gt_u32_e32 32, v0
	s_cbranch_execz .LBB28_28
; %bb.27:
	ds_load_b64 v[18:19], v18
	ds_load_b64 v[20:21], v16 offset:256
	ds_load_2addr_b64 v[5:8], v17 offset1:32
	s_waitcnt lgkmcnt(1)
	v_mul_f64 v[9:10], v[18:19], v[20:21]
	s_waitcnt lgkmcnt(0)
	s_delay_alu instid0(VALU_DEP_1) | instskip(NEXT) | instid1(VALU_DEP_1)
	v_fma_f64 v[16:17], v[7:8], v[5:6], -v[9:10]
	v_div_scale_f64 v[9:10], null, v[16:17], v[16:17], 1.0
	v_div_scale_f64 v[24:25], vcc_lo, 1.0, v[16:17], 1.0
	s_delay_alu instid0(VALU_DEP_2) | instskip(SKIP_2) | instid1(VALU_DEP_1)
	v_rcp_f64_e32 v[11:12], v[9:10]
	s_waitcnt_depctr 0xfff
	v_fma_f64 v[22:23], -v[9:10], v[11:12], 1.0
	v_fma_f64 v[11:12], v[11:12], v[22:23], v[11:12]
	s_delay_alu instid0(VALU_DEP_1) | instskip(NEXT) | instid1(VALU_DEP_1)
	v_fma_f64 v[22:23], -v[9:10], v[11:12], 1.0
	v_fma_f64 v[22:23], v[11:12], v[22:23], v[11:12]
	s_delay_alu instid0(VALU_DEP_1) | instskip(NEXT) | instid1(VALU_DEP_1)
	v_mul_f64 v[26:27], v[24:25], v[22:23]
	v_fma_f64 v[24:25], -v[9:10], v[26:27], v[24:25]
	ds_load_2addr_b64 v[9:12], v15 offset1:32
	s_waitcnt lgkmcnt(0)
	v_mul_f64 v[18:19], v[18:19], v[11:12]
	v_mul_f64 v[20:21], v[20:21], v[9:10]
	v_div_fmas_f64 v[22:23], v[24:25], v[22:23], v[26:27]
	s_delay_alu instid0(VALU_DEP_3) | instskip(NEXT) | instid1(VALU_DEP_3)
	v_fma_f64 v[7:8], v[7:8], v[9:10], -v[18:19]
	v_fma_f64 v[5:6], v[5:6], v[11:12], -v[20:21]
	s_delay_alu instid0(VALU_DEP_3) | instskip(NEXT) | instid1(VALU_DEP_1)
	v_div_fixup_f64 v[9:10], v[22:23], v[16:17], 1.0
	v_mul_f64 v[7:8], v[9:10], v[7:8]
	s_delay_alu instid0(VALU_DEP_3)
	v_mul_f64 v[5:6], v[9:10], v[5:6]
	v_add_nc_u32_e32 v9, 0x2800, v13
	ds_store_2addr_b64 v9, v[7:8], v[5:6] offset0:192 offset1:224
.LBB28_28:
	s_or_b32 exec_lo, exec_lo, s2
	s_waitcnt lgkmcnt(0)
	s_barrier
	buffer_gl0_inv
	s_and_saveexec_b32 s2, s1
	s_cbranch_execz .LBB28_30
; %bb.29:
	ds_load_b64 v[5:6], v13 offset:11776
	s_waitcnt lgkmcnt(0)
	ds_store_b64 v14, v[5:6] offset:6136
.LBB28_30:
	s_or_b32 exec_lo, exec_lo, s2
	s_waitcnt lgkmcnt(0)
	s_barrier
	buffer_gl0_inv
	s_and_saveexec_b32 s2, s1
	s_cbranch_execz .LBB28_36
; %bb.31:
	v_lshlrev_b32_e32 v5, 2, v0
	s_mov_b32 s1, exec_lo
	s_delay_alu instid0(VALU_DEP_1)
	v_lshlrev_b32_e32 v7, 3, v5
                                        ; implicit-def: $vgpr5_vgpr6
	v_cmpx_ne_u32_e32 0, v0
	s_xor_b32 s1, exec_lo, s1
	s_cbranch_execz .LBB28_33
; %bb.32:
	ds_load_b64 v[5:6], v7 offset:8
	ds_load_b64 v[8:9], v7 offset:8200
	;; [unrolled: 1-line block ×3, first 2 shown]
	s_waitcnt lgkmcnt(0)
	v_fma_f64 v[5:6], -v[5:6], v[10:11], v[8:9]
.LBB28_33:
	s_and_not1_saveexec_b32 s1, s1
	s_cbranch_execz .LBB28_35
; %bb.34:
	ds_load_b64 v[5:6], v7 offset:8200
.LBB28_35:
	s_or_b32 exec_lo, exec_lo, s1
	v_add_nc_u32_e32 v8, 8, v7
	ds_load_b64 v[14:15], v7 offset:6168
	ds_load_2addr_stride64_b64 v[8:11], v8 offset0:4 offset1:8
	s_waitcnt lgkmcnt(0)
	v_fma_f64 v[5:6], -v[10:11], v[14:15], v[5:6]
	s_delay_alu instid0(VALU_DEP_1) | instskip(NEXT) | instid1(VALU_DEP_1)
	v_div_scale_f64 v[10:11], null, v[8:9], v[8:9], v[5:6]
	v_rcp_f64_e32 v[14:15], v[10:11]
	s_waitcnt_depctr 0xfff
	v_fma_f64 v[16:17], -v[10:11], v[14:15], 1.0
	s_delay_alu instid0(VALU_DEP_1) | instskip(NEXT) | instid1(VALU_DEP_1)
	v_fma_f64 v[14:15], v[14:15], v[16:17], v[14:15]
	v_fma_f64 v[16:17], -v[10:11], v[14:15], 1.0
	s_delay_alu instid0(VALU_DEP_1) | instskip(SKIP_1) | instid1(VALU_DEP_1)
	v_fma_f64 v[14:15], v[14:15], v[16:17], v[14:15]
	v_div_scale_f64 v[16:17], vcc_lo, v[5:6], v[8:9], v[5:6]
	v_mul_f64 v[18:19], v[16:17], v[14:15]
	s_delay_alu instid0(VALU_DEP_1) | instskip(NEXT) | instid1(VALU_DEP_1)
	v_fma_f64 v[10:11], -v[10:11], v[18:19], v[16:17]
	v_div_fmas_f64 v[10:11], v[10:11], v[14:15], v[18:19]
	s_delay_alu instid0(VALU_DEP_1)
	v_div_fixup_f64 v[5:6], v[10:11], v[8:9], v[5:6]
	ds_store_b64 v7, v[5:6] offset:6152
.LBB28_36:
	s_or_b32 exec_lo, exec_lo, s2
	s_waitcnt lgkmcnt(0)
	s_barrier
	buffer_gl0_inv
	s_and_saveexec_b32 s1, s0
	s_cbranch_execz .LBB28_42
; %bb.37:
	v_lshlrev_b32_e32 v5, 1, v0
	v_cmp_ne_u32_e32 vcc_lo, 0, v0
	s_delay_alu instid0(VALU_DEP_2) | instskip(SKIP_1) | instid1(SALU_CYCLE_1)
	v_lshlrev_b32_e32 v0, 3, v5
                                        ; implicit-def: $vgpr5_vgpr6
	s_and_saveexec_b32 s0, vcc_lo
	s_xor_b32 s0, exec_lo, s0
	s_cbranch_execz .LBB28_39
; %bb.38:
	ds_load_b64 v[5:6], v0
	ds_load_b64 v[7:8], v0 offset:8192
	ds_load_b64 v[9:10], v0 offset:6136
	s_waitcnt lgkmcnt(0)
	v_fma_f64 v[5:6], -v[5:6], v[9:10], v[7:8]
.LBB28_39:
	s_and_not1_saveexec_b32 s0, s0
	s_cbranch_execz .LBB28_41
; %bb.40:
	ds_load_b64 v[5:6], v0 offset:8192
.LBB28_41:
	s_or_b32 exec_lo, exec_lo, s0
	ds_load_2addr_stride64_b64 v[7:10], v0 offset0:4 offset1:8
	ds_load_b64 v[11:12], v0 offset:6152
	s_waitcnt lgkmcnt(0)
	v_fma_f64 v[5:6], -v[9:10], v[11:12], v[5:6]
	s_delay_alu instid0(VALU_DEP_1) | instskip(NEXT) | instid1(VALU_DEP_1)
	v_div_scale_f64 v[9:10], null, v[7:8], v[7:8], v[5:6]
	v_rcp_f64_e32 v[11:12], v[9:10]
	s_waitcnt_depctr 0xfff
	v_fma_f64 v[14:15], -v[9:10], v[11:12], 1.0
	s_delay_alu instid0(VALU_DEP_1) | instskip(NEXT) | instid1(VALU_DEP_1)
	v_fma_f64 v[11:12], v[11:12], v[14:15], v[11:12]
	v_fma_f64 v[14:15], -v[9:10], v[11:12], 1.0
	s_delay_alu instid0(VALU_DEP_1) | instskip(SKIP_1) | instid1(VALU_DEP_1)
	v_fma_f64 v[11:12], v[11:12], v[14:15], v[11:12]
	v_div_scale_f64 v[14:15], vcc_lo, v[5:6], v[7:8], v[5:6]
	v_mul_f64 v[16:17], v[14:15], v[11:12]
	s_delay_alu instid0(VALU_DEP_1) | instskip(NEXT) | instid1(VALU_DEP_1)
	v_fma_f64 v[9:10], -v[9:10], v[16:17], v[14:15]
	v_div_fmas_f64 v[9:10], v[9:10], v[11:12], v[16:17]
	s_delay_alu instid0(VALU_DEP_1)
	v_div_fixup_f64 v[5:6], v[9:10], v[7:8], v[5:6]
	ds_store_b64 v0, v[5:6] offset:6144
.LBB28_42:
	s_or_b32 exec_lo, exec_lo, s1
	s_waitcnt lgkmcnt(0)
	s_barrier
	buffer_gl0_inv
	ds_load_2addr_stride64_b64 v[5:8], v13 offset0:12 offset1:14
	s_waitcnt lgkmcnt(0)
	s_clause 0x1
	global_store_b64 v[1:2], v[5:6], off
	global_store_b64 v[3:4], v[7:8], off
	s_nop 0
	s_sendmsg sendmsg(MSG_DEALLOC_VGPRS)
	s_endpgm
	.section	.rodata,"a",@progbits
	.p2align	6, 0x0
	.amdhsa_kernel _ZN9rocsparseL51gtsv_nopivot_strided_batch_crpcr_pow2_shared_kernelILj128ELj64EdEEviiiPKT1_S3_S3_PS1_
		.amdhsa_group_segment_fixed_size 12800
		.amdhsa_private_segment_fixed_size 0
		.amdhsa_kernarg_size 48
		.amdhsa_user_sgpr_count 15
		.amdhsa_user_sgpr_dispatch_ptr 0
		.amdhsa_user_sgpr_queue_ptr 0
		.amdhsa_user_sgpr_kernarg_segment_ptr 1
		.amdhsa_user_sgpr_dispatch_id 0
		.amdhsa_user_sgpr_private_segment_size 0
		.amdhsa_wavefront_size32 1
		.amdhsa_uses_dynamic_stack 0
		.amdhsa_enable_private_segment 0
		.amdhsa_system_sgpr_workgroup_id_x 1
		.amdhsa_system_sgpr_workgroup_id_y 0
		.amdhsa_system_sgpr_workgroup_id_z 0
		.amdhsa_system_sgpr_workgroup_info 0
		.amdhsa_system_vgpr_workitem_id 0
		.amdhsa_next_free_vgpr 46
		.amdhsa_next_free_sgpr 16
		.amdhsa_reserve_vcc 1
		.amdhsa_float_round_mode_32 0
		.amdhsa_float_round_mode_16_64 0
		.amdhsa_float_denorm_mode_32 3
		.amdhsa_float_denorm_mode_16_64 3
		.amdhsa_dx10_clamp 1
		.amdhsa_ieee_mode 1
		.amdhsa_fp16_overflow 0
		.amdhsa_workgroup_processor_mode 1
		.amdhsa_memory_ordered 1
		.amdhsa_forward_progress 0
		.amdhsa_shared_vgpr_count 0
		.amdhsa_exception_fp_ieee_invalid_op 0
		.amdhsa_exception_fp_denorm_src 0
		.amdhsa_exception_fp_ieee_div_zero 0
		.amdhsa_exception_fp_ieee_overflow 0
		.amdhsa_exception_fp_ieee_underflow 0
		.amdhsa_exception_fp_ieee_inexact 0
		.amdhsa_exception_int_div_zero 0
	.end_amdhsa_kernel
	.section	.text._ZN9rocsparseL51gtsv_nopivot_strided_batch_crpcr_pow2_shared_kernelILj128ELj64EdEEviiiPKT1_S3_S3_PS1_,"axG",@progbits,_ZN9rocsparseL51gtsv_nopivot_strided_batch_crpcr_pow2_shared_kernelILj128ELj64EdEEviiiPKT1_S3_S3_PS1_,comdat
.Lfunc_end28:
	.size	_ZN9rocsparseL51gtsv_nopivot_strided_batch_crpcr_pow2_shared_kernelILj128ELj64EdEEviiiPKT1_S3_S3_PS1_, .Lfunc_end28-_ZN9rocsparseL51gtsv_nopivot_strided_batch_crpcr_pow2_shared_kernelILj128ELj64EdEEviiiPKT1_S3_S3_PS1_
                                        ; -- End function
	.section	.AMDGPU.csdata,"",@progbits
; Kernel info:
; codeLenInByte = 4476
; NumSgprs: 18
; NumVgprs: 46
; ScratchSize: 0
; MemoryBound: 0
; FloatMode: 240
; IeeeMode: 1
; LDSByteSize: 12800 bytes/workgroup (compile time only)
; SGPRBlocks: 2
; VGPRBlocks: 5
; NumSGPRsForWavesPerEU: 18
; NumVGPRsForWavesPerEU: 46
; Occupancy: 10
; WaveLimiterHint : 0
; COMPUTE_PGM_RSRC2:SCRATCH_EN: 0
; COMPUTE_PGM_RSRC2:USER_SGPR: 15
; COMPUTE_PGM_RSRC2:TRAP_HANDLER: 0
; COMPUTE_PGM_RSRC2:TGID_X_EN: 1
; COMPUTE_PGM_RSRC2:TGID_Y_EN: 0
; COMPUTE_PGM_RSRC2:TGID_Z_EN: 0
; COMPUTE_PGM_RSRC2:TIDIG_COMP_CNT: 0
	.section	.text._ZN9rocsparseL51gtsv_nopivot_strided_batch_crpcr_pow2_shared_kernelILj256ELj64EdEEviiiPKT1_S3_S3_PS1_,"axG",@progbits,_ZN9rocsparseL51gtsv_nopivot_strided_batch_crpcr_pow2_shared_kernelILj256ELj64EdEEviiiPKT1_S3_S3_PS1_,comdat
	.globl	_ZN9rocsparseL51gtsv_nopivot_strided_batch_crpcr_pow2_shared_kernelILj256ELj64EdEEviiiPKT1_S3_S3_PS1_ ; -- Begin function _ZN9rocsparseL51gtsv_nopivot_strided_batch_crpcr_pow2_shared_kernelILj256ELj64EdEEviiiPKT1_S3_S3_PS1_
	.p2align	8
	.type	_ZN9rocsparseL51gtsv_nopivot_strided_batch_crpcr_pow2_shared_kernelILj256ELj64EdEEviiiPKT1_S3_S3_PS1_,@function
_ZN9rocsparseL51gtsv_nopivot_strided_batch_crpcr_pow2_shared_kernelILj256ELj64EdEEviiiPKT1_S3_S3_PS1_: ; @_ZN9rocsparseL51gtsv_nopivot_strided_batch_crpcr_pow2_shared_kernelILj256ELj64EdEEviiiPKT1_S3_S3_PS1_
; %bb.0:
	s_clause 0x1
	s_load_b32 s8, s[0:1], 0x8
	s_load_b256 s[0:7], s[0:1], 0x10
	v_add_nc_u32_e32 v19, 1, v0
	s_waitcnt lgkmcnt(0)
	v_mad_u64_u32 v[1:2], null, s15, s8, v[0:1]
	s_delay_alu instid0(VALU_DEP_1) | instskip(SKIP_1) | instid1(VALU_DEP_2)
	v_dual_mov_b32 v4, 0 :: v_dual_add_nc_u32 v3, 0x100, v1
	v_ashrrev_i32_e32 v2, 31, v1
	v_lshlrev_b64 v[3:4], 3, v[3:4]
	s_delay_alu instid0(VALU_DEP_2) | instskip(NEXT) | instid1(VALU_DEP_1)
	v_lshlrev_b64 v[1:2], 3, v[1:2]
	v_add_co_u32 v5, vcc_lo, s0, v1
	s_delay_alu instid0(VALU_DEP_2) | instskip(NEXT) | instid1(VALU_DEP_4)
	v_add_co_ci_u32_e32 v6, vcc_lo, s1, v2, vcc_lo
	v_add_co_u32 v7, vcc_lo, s0, v3
	v_add_co_ci_u32_e32 v8, vcc_lo, s1, v4, vcc_lo
	v_add_co_u32 v9, vcc_lo, s2, v1
	;; [unrolled: 2-line block ×7, first 2 shown]
	v_add_co_ci_u32_e32 v4, vcc_lo, s7, v4, vcc_lo
	s_clause 0x1
	global_load_b64 v[5:6], v[5:6], off
	global_load_b64 v[7:8], v[7:8], off
	s_clause 0x1
	global_load_b64 v[9:10], v[9:10], off
	global_load_b64 v[11:12], v[11:12], off
	;; [unrolled: 3-line block ×4, first 2 shown]
	v_lshlrev_b32_e32 v13, 3, v0
	v_cmp_gt_u32_e64 s0, 0x100, v0
	s_waitcnt vmcnt(6)
	ds_store_2addr_stride64_b64 v13, v[5:6], v[7:8] offset1:4
	s_waitcnt vmcnt(4)
	ds_store_2addr_stride64_b64 v13, v[9:10], v[11:12] offset0:8 offset1:12
	s_waitcnt vmcnt(2)
	ds_store_2addr_stride64_b64 v13, v[17:18], v[14:15] offset0:16 offset1:20
	;; [unrolled: 2-line block ×3, first 2 shown]
	s_waitcnt lgkmcnt(0)
	s_barrier
	buffer_gl0_inv
	s_and_saveexec_b32 s2, s0
	s_cbranch_execz .LBB29_2
; %bb.1:
	v_lshlrev_b32_e32 v18, 4, v19
	v_lshlrev_b32_e32 v24, 1, v19
	s_delay_alu instid0(VALU_DEP_2) | instskip(NEXT) | instid1(VALU_DEP_2)
	v_add_nc_u32_e32 v5, -16, v18
	v_min_u32_e32 v24, 0x1ff, v24
	ds_load_b128 v[5:8], v5
	ds_load_b128 v[9:12], v18 offset:4080
	ds_load_b128 v[14:17], v18 offset:8176
	;; [unrolled: 1-line block ×3, first 2 shown]
	v_lshlrev_b32_e32 v44, 3, v24
	ds_load_2addr_stride64_b64 v[24:27], v44 offset1:8
	s_waitcnt lgkmcnt(3)
	v_div_scale_f64 v[28:29], null, v[9:10], v[9:10], v[7:8]
	v_div_scale_f64 v[40:41], vcc_lo, v[7:8], v[9:10], v[7:8]
	s_waitcnt lgkmcnt(0)
	v_div_scale_f64 v[30:31], null, v[26:27], v[26:27], v[16:17]
	s_delay_alu instid0(VALU_DEP_3) | instskip(NEXT) | instid1(VALU_DEP_1)
	v_rcp_f64_e32 v[32:33], v[28:29]
	v_rcp_f64_e32 v[34:35], v[30:31]
	s_waitcnt_depctr 0xfff
	v_fma_f64 v[36:37], -v[28:29], v[32:33], 1.0
	v_fma_f64 v[38:39], -v[30:31], v[34:35], 1.0
	s_delay_alu instid0(VALU_DEP_2) | instskip(NEXT) | instid1(VALU_DEP_2)
	v_fma_f64 v[32:33], v[32:33], v[36:37], v[32:33]
	v_fma_f64 v[34:35], v[34:35], v[38:39], v[34:35]
	s_delay_alu instid0(VALU_DEP_2) | instskip(NEXT) | instid1(VALU_DEP_2)
	v_fma_f64 v[36:37], -v[28:29], v[32:33], 1.0
	v_fma_f64 v[38:39], -v[30:31], v[34:35], 1.0
	s_delay_alu instid0(VALU_DEP_2) | instskip(SKIP_1) | instid1(VALU_DEP_3)
	v_fma_f64 v[32:33], v[32:33], v[36:37], v[32:33]
	v_div_scale_f64 v[36:37], s1, v[16:17], v[26:27], v[16:17]
	v_fma_f64 v[34:35], v[34:35], v[38:39], v[34:35]
	s_delay_alu instid0(VALU_DEP_3) | instskip(NEXT) | instid1(VALU_DEP_2)
	v_mul_f64 v[38:39], v[40:41], v[32:33]
	v_mul_f64 v[42:43], v[36:37], v[34:35]
	s_delay_alu instid0(VALU_DEP_2) | instskip(NEXT) | instid1(VALU_DEP_2)
	v_fma_f64 v[28:29], -v[28:29], v[38:39], v[40:41]
	v_fma_f64 v[30:31], -v[30:31], v[42:43], v[36:37]
	s_delay_alu instid0(VALU_DEP_2) | instskip(SKIP_1) | instid1(VALU_DEP_2)
	v_div_fmas_f64 v[28:29], v[28:29], v[32:33], v[38:39]
	s_mov_b32 vcc_lo, s1
	v_div_fmas_f64 v[30:31], v[30:31], v[34:35], v[42:43]
	s_delay_alu instid0(VALU_DEP_2)
	v_div_fixup_f64 v[28:29], v[28:29], v[9:10], v[7:8]
	ds_load_2addr_stride64_b64 v[7:10], v44 offset0:16 offset1:32
	v_div_fixup_f64 v[16:17], v[30:31], v[26:27], v[16:17]
	v_fma_f64 v[20:21], -v[28:29], v[20:21], v[22:23]
	v_fma_f64 v[11:12], -v[28:29], v[14:15], v[11:12]
	v_mul_f64 v[5:6], v[28:29], -v[5:6]
	v_add_nc_u32_e32 v14, -8, v18
	v_add_nc_u32_e32 v15, 0x1f8, v18
	s_waitcnt lgkmcnt(0)
	v_mul_f64 v[7:8], v[16:17], -v[7:8]
	v_fma_f64 v[9:10], -v[16:17], v[9:10], v[20:21]
	v_fma_f64 v[11:12], -v[16:17], v[24:25], v[11:12]
	ds_store_b64 v18, v[9:10] offset:16376
	ds_store_b64 v14, v[5:6]
	ds_store_2addr_stride64_b64 v15, v[11:12], v[7:8] offset0:7 offset1:15
.LBB29_2:
	s_or_b32 exec_lo, exec_lo, s2
	v_cmp_gt_u32_e64 s1, 0x80, v0
	s_waitcnt lgkmcnt(0)
	s_barrier
	buffer_gl0_inv
	s_and_saveexec_b32 s3, s1
	s_cbranch_execz .LBB29_4
; %bb.3:
	v_lshlrev_b32_e32 v18, 5, v19
	s_delay_alu instid0(VALU_DEP_1)
	v_add_nc_u32_e32 v5, 0x800, v18
	v_add_nc_u32_e32 v40, -8, v18
	v_subrev_nc_u32_e32 v9, 24, v18
	v_add_nc_u32_e32 v10, 0x1800, v18
	ds_load_2addr_b64 v[5:8], v5 offset0:253 offset1:255
	ds_load_b64 v[20:21], v40
	ds_load_b64 v[24:25], v9
	v_lshl_or_b32 v9, v19, 2, 1
	s_delay_alu instid0(VALU_DEP_1) | instskip(NEXT) | instid1(VALU_DEP_1)
	v_min_u32_e32 v9, 0x1ff, v9
	v_lshlrev_b32_e32 v41, 3, v9
	ds_load_2addr_b64 v[9:12], v10 offset0:253 offset1:255
	ds_load_2addr_stride64_b64 v[14:17], v41 offset1:8
	s_waitcnt lgkmcnt(3)
	v_div_scale_f64 v[22:23], null, v[5:6], v[5:6], v[20:21]
	v_div_scale_f64 v[36:37], vcc_lo, v[20:21], v[5:6], v[20:21]
	s_waitcnt lgkmcnt(0)
	v_div_scale_f64 v[26:27], null, v[16:17], v[16:17], v[11:12]
	s_delay_alu instid0(VALU_DEP_3) | instskip(NEXT) | instid1(VALU_DEP_1)
	v_rcp_f64_e32 v[28:29], v[22:23]
	v_rcp_f64_e32 v[30:31], v[26:27]
	s_waitcnt_depctr 0xfff
	v_fma_f64 v[32:33], -v[22:23], v[28:29], 1.0
	v_fma_f64 v[34:35], -v[26:27], v[30:31], 1.0
	s_delay_alu instid0(VALU_DEP_2) | instskip(NEXT) | instid1(VALU_DEP_2)
	v_fma_f64 v[28:29], v[28:29], v[32:33], v[28:29]
	v_fma_f64 v[30:31], v[30:31], v[34:35], v[30:31]
	s_delay_alu instid0(VALU_DEP_2) | instskip(NEXT) | instid1(VALU_DEP_2)
	v_fma_f64 v[32:33], -v[22:23], v[28:29], 1.0
	v_fma_f64 v[34:35], -v[26:27], v[30:31], 1.0
	s_delay_alu instid0(VALU_DEP_2) | instskip(SKIP_1) | instid1(VALU_DEP_3)
	v_fma_f64 v[28:29], v[28:29], v[32:33], v[28:29]
	v_div_scale_f64 v[32:33], s2, v[11:12], v[16:17], v[11:12]
	v_fma_f64 v[30:31], v[30:31], v[34:35], v[30:31]
	s_delay_alu instid0(VALU_DEP_3) | instskip(NEXT) | instid1(VALU_DEP_2)
	v_mul_f64 v[34:35], v[36:37], v[28:29]
	v_mul_f64 v[38:39], v[32:33], v[30:31]
	s_delay_alu instid0(VALU_DEP_2) | instskip(NEXT) | instid1(VALU_DEP_2)
	v_fma_f64 v[22:23], -v[22:23], v[34:35], v[36:37]
	v_fma_f64 v[26:27], -v[26:27], v[38:39], v[32:33]
	s_delay_alu instid0(VALU_DEP_2) | instskip(SKIP_1) | instid1(VALU_DEP_2)
	v_div_fmas_f64 v[22:23], v[22:23], v[28:29], v[34:35]
	s_mov_b32 vcc_lo, s2
	v_div_fmas_f64 v[26:27], v[26:27], v[30:31], v[38:39]
	s_delay_alu instid0(VALU_DEP_2)
	v_div_fixup_f64 v[28:29], v[22:23], v[5:6], v[20:21]
	v_add_nc_u32_e32 v5, 0x3800, v18
	ds_load_2addr_b64 v[20:23], v5 offset0:253 offset1:255
	v_div_fixup_f64 v[11:12], v[26:27], v[16:17], v[11:12]
	s_waitcnt lgkmcnt(0)
	v_fma_f64 v[16:17], -v[28:29], v[20:21], v[22:23]
	v_fma_f64 v[9:10], -v[28:29], v[9:10], v[7:8]
	ds_load_2addr_stride64_b64 v[5:8], v41 offset0:16 offset1:32
	v_mul_f64 v[20:21], v[28:29], -v[24:25]
	s_waitcnt lgkmcnt(0)
	v_mul_f64 v[5:6], v[11:12], -v[5:6]
	v_fma_f64 v[7:8], -v[11:12], v[7:8], v[16:17]
	v_fma_f64 v[9:10], -v[11:12], v[14:15], v[9:10]
	v_add_nc_u32_e32 v11, 0x1f8, v18
	ds_store_b64 v18, v[7:8] offset:16376
	ds_store_b64 v40, v[20:21]
	ds_store_2addr_stride64_b64 v11, v[9:10], v[5:6] offset0:7 offset1:15
.LBB29_4:
	s_or_b32 exec_lo, exec_lo, s3
	v_cmp_gt_u32_e64 s2, 64, v0
	v_lshlrev_b32_e32 v14, 6, v19
	s_waitcnt lgkmcnt(0)
	s_barrier
	buffer_gl0_inv
	s_and_saveexec_b32 s4, s2
	s_cbranch_execz .LBB29_6
; %bb.5:
	v_add_nc_u32_e32 v5, 0x800, v14
	v_add_nc_u32_e32 v40, -8, v14
	v_subrev_nc_u32_e32 v9, 40, v14
	v_add_nc_u32_e32 v10, 0x1800, v14
	ds_load_2addr_b64 v[5:8], v5 offset0:251 offset1:255
	ds_load_b64 v[20:21], v40
	ds_load_b64 v[24:25], v9
	v_lshl_or_b32 v9, v19, 3, 3
	s_delay_alu instid0(VALU_DEP_1) | instskip(NEXT) | instid1(VALU_DEP_1)
	v_min_u32_e32 v9, 0x1ff, v9
	v_lshlrev_b32_e32 v41, 3, v9
	ds_load_2addr_b64 v[9:12], v10 offset0:251 offset1:255
	ds_load_2addr_stride64_b64 v[15:18], v41 offset1:8
	s_waitcnt lgkmcnt(3)
	v_div_scale_f64 v[22:23], null, v[5:6], v[5:6], v[20:21]
	v_div_scale_f64 v[36:37], vcc_lo, v[20:21], v[5:6], v[20:21]
	s_waitcnt lgkmcnt(0)
	v_div_scale_f64 v[26:27], null, v[17:18], v[17:18], v[11:12]
	s_delay_alu instid0(VALU_DEP_3) | instskip(NEXT) | instid1(VALU_DEP_1)
	v_rcp_f64_e32 v[28:29], v[22:23]
	v_rcp_f64_e32 v[30:31], v[26:27]
	s_waitcnt_depctr 0xfff
	v_fma_f64 v[32:33], -v[22:23], v[28:29], 1.0
	v_fma_f64 v[34:35], -v[26:27], v[30:31], 1.0
	s_delay_alu instid0(VALU_DEP_2) | instskip(NEXT) | instid1(VALU_DEP_2)
	v_fma_f64 v[28:29], v[28:29], v[32:33], v[28:29]
	v_fma_f64 v[30:31], v[30:31], v[34:35], v[30:31]
	s_delay_alu instid0(VALU_DEP_2) | instskip(NEXT) | instid1(VALU_DEP_2)
	v_fma_f64 v[32:33], -v[22:23], v[28:29], 1.0
	v_fma_f64 v[34:35], -v[26:27], v[30:31], 1.0
	s_delay_alu instid0(VALU_DEP_2) | instskip(SKIP_1) | instid1(VALU_DEP_3)
	v_fma_f64 v[28:29], v[28:29], v[32:33], v[28:29]
	v_div_scale_f64 v[32:33], s3, v[11:12], v[17:18], v[11:12]
	v_fma_f64 v[30:31], v[30:31], v[34:35], v[30:31]
	s_delay_alu instid0(VALU_DEP_3) | instskip(NEXT) | instid1(VALU_DEP_2)
	v_mul_f64 v[34:35], v[36:37], v[28:29]
	v_mul_f64 v[38:39], v[32:33], v[30:31]
	s_delay_alu instid0(VALU_DEP_2) | instskip(NEXT) | instid1(VALU_DEP_2)
	v_fma_f64 v[22:23], -v[22:23], v[34:35], v[36:37]
	v_fma_f64 v[26:27], -v[26:27], v[38:39], v[32:33]
	s_delay_alu instid0(VALU_DEP_2) | instskip(SKIP_1) | instid1(VALU_DEP_2)
	v_div_fmas_f64 v[22:23], v[22:23], v[28:29], v[34:35]
	s_mov_b32 vcc_lo, s3
	v_div_fmas_f64 v[26:27], v[26:27], v[30:31], v[38:39]
	s_delay_alu instid0(VALU_DEP_2)
	v_div_fixup_f64 v[28:29], v[22:23], v[5:6], v[20:21]
	v_add_nc_u32_e32 v5, 0x3800, v14
	ds_load_2addr_b64 v[20:23], v5 offset0:251 offset1:255
	v_div_fixup_f64 v[11:12], v[26:27], v[17:18], v[11:12]
	s_waitcnt lgkmcnt(0)
	v_fma_f64 v[17:18], -v[28:29], v[20:21], v[22:23]
	v_fma_f64 v[9:10], -v[28:29], v[9:10], v[7:8]
	ds_load_2addr_stride64_b64 v[5:8], v41 offset0:16 offset1:32
	v_mul_f64 v[20:21], v[28:29], -v[24:25]
	s_waitcnt lgkmcnt(0)
	v_mul_f64 v[5:6], v[11:12], -v[5:6]
	v_fma_f64 v[7:8], -v[11:12], v[7:8], v[17:18]
	v_fma_f64 v[9:10], -v[11:12], v[15:16], v[9:10]
	v_add_nc_u32_e32 v11, 0x1f8, v14
	ds_store_b64 v14, v[7:8] offset:16376
	ds_store_b64 v40, v[20:21]
	ds_store_2addr_stride64_b64 v11, v[9:10], v[5:6] offset0:7 offset1:15
.LBB29_6:
	s_or_b32 exec_lo, exec_lo, s4
	s_waitcnt lgkmcnt(0)
	s_barrier
	buffer_gl0_inv
	s_and_saveexec_b32 s3, s2
	s_cbranch_execz .LBB29_8
; %bb.7:
	v_add_nc_u32_e32 v5, 0x1f8, v14
	v_add_nc_u32_e32 v9, -8, v14
	ds_load_2addr_stride64_b64 v[5:8], v5 offset0:7 offset1:15
	ds_load_b64 v[9:10], v9
	ds_load_b64 v[11:12], v14 offset:16376
	s_waitcnt lgkmcnt(1)
	ds_store_2addr_stride64_b64 v13, v[9:10], v[5:6] offset0:40 offset1:41
	s_waitcnt lgkmcnt(1)
	ds_store_2addr_stride64_b64 v13, v[7:8], v[11:12] offset0:42 offset1:44
.LBB29_8:
	s_or_b32 exec_lo, exec_lo, s3
	v_or_b32_e32 v16, 0x5000, v13
	v_add_nc_u32_e32 v18, 0x5400, v13
	v_add_nc_u32_e32 v17, 0x5200, v13
	v_or_b32_e32 v15, 0x5800, v13
	s_waitcnt lgkmcnt(0)
	s_barrier
	buffer_gl0_inv
                                        ; implicit-def: $vgpr9_vgpr10
                                        ; implicit-def: $vgpr11_vgpr12
                                        ; implicit-def: $vgpr7_vgpr8
                                        ; implicit-def: $vgpr5_vgpr6
	s_and_saveexec_b32 s4, s2
	s_cbranch_execz .LBB29_10
; %bb.9:
	v_max_u32_e32 v5, 1, v0
	v_min_u32_e32 v9, 63, v19
	s_delay_alu instid0(VALU_DEP_2) | instskip(NEXT) | instid1(VALU_DEP_2)
	v_lshlrev_b32_e32 v5, 3, v5
	v_lshlrev_b32_e32 v45, 3, v9
	s_delay_alu instid0(VALU_DEP_2)
	v_add_nc_u32_e32 v22, 0x1f8, v5
	ds_load_2addr_stride64_b64 v[5:8], v22 offset0:39 offset1:40
	ds_load_b64 v[20:21], v16
	ds_load_b64 v[23:24], v18
	;; [unrolled: 1-line block ×4, first 2 shown]
	ds_load_2addr_stride64_b64 v[9:12], v45 offset0:40 offset1:41
	s_waitcnt lgkmcnt(4)
	v_div_scale_f64 v[29:30], null, v[7:8], v[7:8], v[20:21]
	v_div_scale_f64 v[41:42], vcc_lo, v[20:21], v[7:8], v[20:21]
	s_waitcnt lgkmcnt(0)
	v_div_scale_f64 v[31:32], null, v[11:12], v[11:12], v[23:24]
	s_delay_alu instid0(VALU_DEP_3) | instskip(NEXT) | instid1(VALU_DEP_1)
	v_rcp_f64_e32 v[33:34], v[29:30]
	v_rcp_f64_e32 v[35:36], v[31:32]
	s_waitcnt_depctr 0xfff
	v_fma_f64 v[37:38], -v[29:30], v[33:34], 1.0
	v_fma_f64 v[39:40], -v[31:32], v[35:36], 1.0
	s_delay_alu instid0(VALU_DEP_2) | instskip(NEXT) | instid1(VALU_DEP_2)
	v_fma_f64 v[33:34], v[33:34], v[37:38], v[33:34]
	v_fma_f64 v[35:36], v[35:36], v[39:40], v[35:36]
	s_delay_alu instid0(VALU_DEP_2) | instskip(NEXT) | instid1(VALU_DEP_2)
	v_fma_f64 v[37:38], -v[29:30], v[33:34], 1.0
	v_fma_f64 v[39:40], -v[31:32], v[35:36], 1.0
	s_delay_alu instid0(VALU_DEP_2) | instskip(SKIP_1) | instid1(VALU_DEP_3)
	v_fma_f64 v[33:34], v[33:34], v[37:38], v[33:34]
	v_div_scale_f64 v[37:38], s3, v[23:24], v[11:12], v[23:24]
	v_fma_f64 v[35:36], v[35:36], v[39:40], v[35:36]
	s_delay_alu instid0(VALU_DEP_3) | instskip(NEXT) | instid1(VALU_DEP_2)
	v_mul_f64 v[39:40], v[41:42], v[33:34]
	v_mul_f64 v[43:44], v[37:38], v[35:36]
	s_delay_alu instid0(VALU_DEP_2) | instskip(NEXT) | instid1(VALU_DEP_2)
	v_fma_f64 v[29:30], -v[29:30], v[39:40], v[41:42]
	v_fma_f64 v[31:32], -v[31:32], v[43:44], v[37:38]
	s_delay_alu instid0(VALU_DEP_2) | instskip(SKIP_1) | instid1(VALU_DEP_2)
	v_div_fmas_f64 v[29:30], v[29:30], v[33:34], v[39:40]
	s_mov_b32 vcc_lo, s3
	v_div_fmas_f64 v[31:32], v[31:32], v[35:36], v[43:44]
	s_delay_alu instid0(VALU_DEP_2)
	v_div_fixup_f64 v[7:8], v[29:30], v[7:8], v[20:21]
	ds_load_2addr_stride64_b64 v[19:22], v22 offset0:41 offset1:43
	v_div_fixup_f64 v[11:12], v[31:32], v[11:12], v[23:24]
	s_waitcnt lgkmcnt(0)
	v_fma_f64 v[23:24], -v[7:8], v[19:20], v[25:26]
	v_fma_f64 v[25:26], -v[7:8], v[21:22], v[27:28]
	ds_load_2addr_stride64_b64 v[19:22], v45 offset0:42 offset1:44
	v_mul_f64 v[5:6], v[7:8], -v[5:6]
	v_fma_f64 v[7:8], -v[11:12], v[9:10], v[23:24]
	s_waitcnt lgkmcnt(0)
	v_fma_f64 v[9:10], -v[11:12], v[21:22], v[25:26]
	v_mul_f64 v[11:12], v[11:12], -v[19:20]
.LBB29_10:
	s_or_b32 exec_lo, exec_lo, s4
	s_barrier
	buffer_gl0_inv
	s_and_saveexec_b32 s3, s2
	s_cbranch_execz .LBB29_12
; %bb.11:
	ds_store_b64 v15, v[9:10]
	ds_store_b64 v16, v[5:6]
	ds_store_b64 v17, v[7:8]
	ds_store_b64 v18, v[11:12]
.LBB29_12:
	s_or_b32 exec_lo, exec_lo, s3
	s_waitcnt lgkmcnt(0)
	s_barrier
	buffer_gl0_inv
	s_and_saveexec_b32 s4, s2
	s_cbranch_execz .LBB29_14
; %bb.13:
	v_max_u32_e32 v5, 2, v0
	v_min_u32_e32 v9, 61, v0
	s_delay_alu instid0(VALU_DEP_2) | instskip(NEXT) | instid1(VALU_DEP_2)
	v_lshlrev_b32_e32 v5, 3, v5
	v_lshlrev_b32_e32 v9, 3, v9
	s_delay_alu instid0(VALU_DEP_2) | instskip(NEXT) | instid1(VALU_DEP_2)
	v_add_nc_u32_e32 v43, 0x1f0, v5
	v_add_nc_u32_e32 v44, 16, v9
	ds_load_2addr_stride64_b64 v[5:8], v43 offset0:39 offset1:40
	ds_load_b64 v[19:20], v16
	ds_load_b64 v[23:24], v18
	;; [unrolled: 1-line block ×4, first 2 shown]
	ds_load_2addr_stride64_b64 v[9:12], v44 offset0:40 offset1:41
	s_waitcnt lgkmcnt(4)
	v_div_scale_f64 v[21:22], null, v[7:8], v[7:8], v[19:20]
	v_div_scale_f64 v[39:40], vcc_lo, v[19:20], v[7:8], v[19:20]
	s_waitcnt lgkmcnt(0)
	v_div_scale_f64 v[29:30], null, v[11:12], v[11:12], v[23:24]
	s_delay_alu instid0(VALU_DEP_3) | instskip(NEXT) | instid1(VALU_DEP_1)
	v_rcp_f64_e32 v[31:32], v[21:22]
	v_rcp_f64_e32 v[33:34], v[29:30]
	s_waitcnt_depctr 0xfff
	v_fma_f64 v[35:36], -v[21:22], v[31:32], 1.0
	v_fma_f64 v[37:38], -v[29:30], v[33:34], 1.0
	s_delay_alu instid0(VALU_DEP_2) | instskip(NEXT) | instid1(VALU_DEP_2)
	v_fma_f64 v[31:32], v[31:32], v[35:36], v[31:32]
	v_fma_f64 v[33:34], v[33:34], v[37:38], v[33:34]
	s_delay_alu instid0(VALU_DEP_2) | instskip(NEXT) | instid1(VALU_DEP_2)
	v_fma_f64 v[35:36], -v[21:22], v[31:32], 1.0
	v_fma_f64 v[37:38], -v[29:30], v[33:34], 1.0
	s_delay_alu instid0(VALU_DEP_2) | instskip(SKIP_1) | instid1(VALU_DEP_3)
	v_fma_f64 v[31:32], v[31:32], v[35:36], v[31:32]
	v_div_scale_f64 v[35:36], s3, v[23:24], v[11:12], v[23:24]
	v_fma_f64 v[33:34], v[33:34], v[37:38], v[33:34]
	s_delay_alu instid0(VALU_DEP_3) | instskip(NEXT) | instid1(VALU_DEP_2)
	v_mul_f64 v[37:38], v[39:40], v[31:32]
	v_mul_f64 v[41:42], v[35:36], v[33:34]
	s_delay_alu instid0(VALU_DEP_2) | instskip(NEXT) | instid1(VALU_DEP_2)
	v_fma_f64 v[21:22], -v[21:22], v[37:38], v[39:40]
	v_fma_f64 v[29:30], -v[29:30], v[41:42], v[35:36]
	s_delay_alu instid0(VALU_DEP_2) | instskip(SKIP_1) | instid1(VALU_DEP_2)
	v_div_fmas_f64 v[21:22], v[21:22], v[31:32], v[37:38]
	s_mov_b32 vcc_lo, s3
	v_div_fmas_f64 v[29:30], v[29:30], v[33:34], v[41:42]
	s_delay_alu instid0(VALU_DEP_2)
	v_div_fixup_f64 v[7:8], v[21:22], v[7:8], v[19:20]
	ds_load_2addr_stride64_b64 v[19:22], v43 offset0:41 offset1:43
	v_div_fixup_f64 v[11:12], v[29:30], v[11:12], v[23:24]
	s_waitcnt lgkmcnt(0)
	v_fma_f64 v[23:24], -v[7:8], v[19:20], v[25:26]
	v_fma_f64 v[25:26], -v[7:8], v[21:22], v[27:28]
	ds_load_2addr_stride64_b64 v[19:22], v44 offset0:42 offset1:44
	v_mul_f64 v[5:6], v[7:8], -v[5:6]
	v_fma_f64 v[7:8], -v[11:12], v[9:10], v[23:24]
	s_waitcnt lgkmcnt(0)
	v_fma_f64 v[9:10], -v[11:12], v[21:22], v[25:26]
	v_mul_f64 v[11:12], v[11:12], -v[19:20]
.LBB29_14:
	s_or_b32 exec_lo, exec_lo, s4
	s_barrier
	buffer_gl0_inv
	s_and_saveexec_b32 s3, s2
	s_cbranch_execz .LBB29_16
; %bb.15:
	ds_store_b64 v15, v[9:10]
	ds_store_b64 v16, v[5:6]
	;; [unrolled: 1-line block ×4, first 2 shown]
.LBB29_16:
	s_or_b32 exec_lo, exec_lo, s3
	s_waitcnt lgkmcnt(0)
	s_barrier
	buffer_gl0_inv
	s_and_saveexec_b32 s4, s2
	s_cbranch_execz .LBB29_18
; %bb.17:
	v_max_u32_e32 v5, 4, v0
	v_min_u32_e32 v9, 59, v0
	s_delay_alu instid0(VALU_DEP_2) | instskip(NEXT) | instid1(VALU_DEP_2)
	v_lshlrev_b32_e32 v5, 3, v5
	v_lshlrev_b32_e32 v9, 3, v9
	s_delay_alu instid0(VALU_DEP_2) | instskip(NEXT) | instid1(VALU_DEP_2)
	v_add_nc_u32_e32 v43, 0x1e0, v5
	v_add_nc_u32_e32 v44, 32, v9
	ds_load_2addr_stride64_b64 v[5:8], v43 offset0:39 offset1:40
	ds_load_b64 v[19:20], v16
	ds_load_b64 v[23:24], v18
	;; [unrolled: 1-line block ×4, first 2 shown]
	ds_load_2addr_stride64_b64 v[9:12], v44 offset0:40 offset1:41
	s_waitcnt lgkmcnt(4)
	v_div_scale_f64 v[21:22], null, v[7:8], v[7:8], v[19:20]
	v_div_scale_f64 v[39:40], vcc_lo, v[19:20], v[7:8], v[19:20]
	s_waitcnt lgkmcnt(0)
	v_div_scale_f64 v[29:30], null, v[11:12], v[11:12], v[23:24]
	s_delay_alu instid0(VALU_DEP_3) | instskip(NEXT) | instid1(VALU_DEP_1)
	v_rcp_f64_e32 v[31:32], v[21:22]
	v_rcp_f64_e32 v[33:34], v[29:30]
	s_waitcnt_depctr 0xfff
	v_fma_f64 v[35:36], -v[21:22], v[31:32], 1.0
	v_fma_f64 v[37:38], -v[29:30], v[33:34], 1.0
	s_delay_alu instid0(VALU_DEP_2) | instskip(NEXT) | instid1(VALU_DEP_2)
	v_fma_f64 v[31:32], v[31:32], v[35:36], v[31:32]
	v_fma_f64 v[33:34], v[33:34], v[37:38], v[33:34]
	s_delay_alu instid0(VALU_DEP_2) | instskip(NEXT) | instid1(VALU_DEP_2)
	v_fma_f64 v[35:36], -v[21:22], v[31:32], 1.0
	v_fma_f64 v[37:38], -v[29:30], v[33:34], 1.0
	s_delay_alu instid0(VALU_DEP_2) | instskip(SKIP_1) | instid1(VALU_DEP_3)
	v_fma_f64 v[31:32], v[31:32], v[35:36], v[31:32]
	v_div_scale_f64 v[35:36], s3, v[23:24], v[11:12], v[23:24]
	v_fma_f64 v[33:34], v[33:34], v[37:38], v[33:34]
	s_delay_alu instid0(VALU_DEP_3) | instskip(NEXT) | instid1(VALU_DEP_2)
	v_mul_f64 v[37:38], v[39:40], v[31:32]
	v_mul_f64 v[41:42], v[35:36], v[33:34]
	s_delay_alu instid0(VALU_DEP_2) | instskip(NEXT) | instid1(VALU_DEP_2)
	v_fma_f64 v[21:22], -v[21:22], v[37:38], v[39:40]
	v_fma_f64 v[29:30], -v[29:30], v[41:42], v[35:36]
	s_delay_alu instid0(VALU_DEP_2) | instskip(SKIP_1) | instid1(VALU_DEP_2)
	v_div_fmas_f64 v[21:22], v[21:22], v[31:32], v[37:38]
	s_mov_b32 vcc_lo, s3
	v_div_fmas_f64 v[29:30], v[29:30], v[33:34], v[41:42]
	s_delay_alu instid0(VALU_DEP_2)
	v_div_fixup_f64 v[7:8], v[21:22], v[7:8], v[19:20]
	ds_load_2addr_stride64_b64 v[19:22], v43 offset0:41 offset1:43
	v_div_fixup_f64 v[11:12], v[29:30], v[11:12], v[23:24]
	s_waitcnt lgkmcnt(0)
	v_fma_f64 v[23:24], -v[7:8], v[19:20], v[25:26]
	v_fma_f64 v[25:26], -v[7:8], v[21:22], v[27:28]
	ds_load_2addr_stride64_b64 v[19:22], v44 offset0:42 offset1:44
	v_mul_f64 v[5:6], v[7:8], -v[5:6]
	v_fma_f64 v[7:8], -v[11:12], v[9:10], v[23:24]
	s_waitcnt lgkmcnt(0)
	v_fma_f64 v[9:10], -v[11:12], v[21:22], v[25:26]
	v_mul_f64 v[11:12], v[11:12], -v[19:20]
.LBB29_18:
	s_or_b32 exec_lo, exec_lo, s4
	s_barrier
	buffer_gl0_inv
	s_and_saveexec_b32 s3, s2
	s_cbranch_execz .LBB29_20
; %bb.19:
	ds_store_b64 v15, v[9:10]
	ds_store_b64 v16, v[5:6]
	;; [unrolled: 1-line block ×4, first 2 shown]
.LBB29_20:
	s_or_b32 exec_lo, exec_lo, s3
	s_waitcnt lgkmcnt(0)
	s_barrier
	buffer_gl0_inv
	s_and_saveexec_b32 s4, s2
	s_cbranch_execz .LBB29_22
; %bb.21:
	v_max_u32_e32 v5, 8, v0
	v_min_u32_e32 v9, 55, v0
	s_delay_alu instid0(VALU_DEP_2) | instskip(NEXT) | instid1(VALU_DEP_2)
	v_lshlrev_b32_e32 v5, 3, v5
	v_lshlrev_b32_e32 v9, 3, v9
	s_delay_alu instid0(VALU_DEP_2) | instskip(NEXT) | instid1(VALU_DEP_2)
	v_add_nc_u32_e32 v43, 0x1c0, v5
	v_add_nc_u32_e32 v44, 64, v9
	ds_load_2addr_stride64_b64 v[5:8], v43 offset0:39 offset1:40
	ds_load_b64 v[19:20], v16
	ds_load_b64 v[23:24], v18
	;; [unrolled: 1-line block ×4, first 2 shown]
	ds_load_2addr_stride64_b64 v[9:12], v44 offset0:40 offset1:41
	s_waitcnt lgkmcnt(4)
	v_div_scale_f64 v[21:22], null, v[7:8], v[7:8], v[19:20]
	v_div_scale_f64 v[39:40], vcc_lo, v[19:20], v[7:8], v[19:20]
	s_waitcnt lgkmcnt(0)
	v_div_scale_f64 v[29:30], null, v[11:12], v[11:12], v[23:24]
	s_delay_alu instid0(VALU_DEP_3) | instskip(NEXT) | instid1(VALU_DEP_1)
	v_rcp_f64_e32 v[31:32], v[21:22]
	v_rcp_f64_e32 v[33:34], v[29:30]
	s_waitcnt_depctr 0xfff
	v_fma_f64 v[35:36], -v[21:22], v[31:32], 1.0
	v_fma_f64 v[37:38], -v[29:30], v[33:34], 1.0
	s_delay_alu instid0(VALU_DEP_2) | instskip(NEXT) | instid1(VALU_DEP_2)
	v_fma_f64 v[31:32], v[31:32], v[35:36], v[31:32]
	v_fma_f64 v[33:34], v[33:34], v[37:38], v[33:34]
	s_delay_alu instid0(VALU_DEP_2) | instskip(NEXT) | instid1(VALU_DEP_2)
	v_fma_f64 v[35:36], -v[21:22], v[31:32], 1.0
	v_fma_f64 v[37:38], -v[29:30], v[33:34], 1.0
	s_delay_alu instid0(VALU_DEP_2) | instskip(SKIP_1) | instid1(VALU_DEP_3)
	v_fma_f64 v[31:32], v[31:32], v[35:36], v[31:32]
	v_div_scale_f64 v[35:36], s3, v[23:24], v[11:12], v[23:24]
	v_fma_f64 v[33:34], v[33:34], v[37:38], v[33:34]
	s_delay_alu instid0(VALU_DEP_3) | instskip(NEXT) | instid1(VALU_DEP_2)
	v_mul_f64 v[37:38], v[39:40], v[31:32]
	v_mul_f64 v[41:42], v[35:36], v[33:34]
	s_delay_alu instid0(VALU_DEP_2) | instskip(NEXT) | instid1(VALU_DEP_2)
	v_fma_f64 v[21:22], -v[21:22], v[37:38], v[39:40]
	v_fma_f64 v[29:30], -v[29:30], v[41:42], v[35:36]
	s_delay_alu instid0(VALU_DEP_2) | instskip(SKIP_1) | instid1(VALU_DEP_2)
	v_div_fmas_f64 v[21:22], v[21:22], v[31:32], v[37:38]
	s_mov_b32 vcc_lo, s3
	v_div_fmas_f64 v[29:30], v[29:30], v[33:34], v[41:42]
	s_delay_alu instid0(VALU_DEP_2)
	v_div_fixup_f64 v[7:8], v[21:22], v[7:8], v[19:20]
	ds_load_2addr_stride64_b64 v[19:22], v43 offset0:41 offset1:43
	v_div_fixup_f64 v[11:12], v[29:30], v[11:12], v[23:24]
	s_waitcnt lgkmcnt(0)
	v_fma_f64 v[23:24], -v[7:8], v[19:20], v[25:26]
	v_fma_f64 v[25:26], -v[7:8], v[21:22], v[27:28]
	ds_load_2addr_stride64_b64 v[19:22], v44 offset0:42 offset1:44
	v_mul_f64 v[5:6], v[7:8], -v[5:6]
	v_fma_f64 v[7:8], -v[11:12], v[9:10], v[23:24]
	s_waitcnt lgkmcnt(0)
	v_fma_f64 v[9:10], -v[11:12], v[21:22], v[25:26]
	v_mul_f64 v[11:12], v[11:12], -v[19:20]
.LBB29_22:
	s_or_b32 exec_lo, exec_lo, s4
	s_barrier
	buffer_gl0_inv
	s_and_saveexec_b32 s3, s2
	s_cbranch_execz .LBB29_24
; %bb.23:
	ds_store_b64 v15, v[9:10]
	ds_store_b64 v16, v[5:6]
	ds_store_b64 v17, v[7:8]
	ds_store_b64 v18, v[11:12]
.LBB29_24:
	s_or_b32 exec_lo, exec_lo, s3
	s_waitcnt lgkmcnt(0)
	s_barrier
	buffer_gl0_inv
	s_and_saveexec_b32 s4, s2
	s_cbranch_execz .LBB29_26
; %bb.25:
	v_max_u32_e32 v5, 16, v0
	v_min_u32_e32 v9, 47, v0
	s_delay_alu instid0(VALU_DEP_2) | instskip(NEXT) | instid1(VALU_DEP_2)
	v_lshlrev_b32_e32 v5, 3, v5
	v_lshlrev_b32_e32 v9, 3, v9
	s_delay_alu instid0(VALU_DEP_2) | instskip(NEXT) | instid1(VALU_DEP_2)
	v_add_nc_u32_e32 v43, 0x180, v5
	v_add_nc_u32_e32 v44, 0x80, v9
	ds_load_2addr_stride64_b64 v[5:8], v43 offset0:39 offset1:40
	ds_load_b64 v[19:20], v16
	ds_load_b64 v[23:24], v18
	;; [unrolled: 1-line block ×4, first 2 shown]
	ds_load_2addr_stride64_b64 v[9:12], v44 offset0:40 offset1:41
	s_waitcnt lgkmcnt(4)
	v_div_scale_f64 v[21:22], null, v[7:8], v[7:8], v[19:20]
	v_div_scale_f64 v[39:40], vcc_lo, v[19:20], v[7:8], v[19:20]
	s_waitcnt lgkmcnt(0)
	v_div_scale_f64 v[29:30], null, v[11:12], v[11:12], v[23:24]
	s_delay_alu instid0(VALU_DEP_3) | instskip(NEXT) | instid1(VALU_DEP_1)
	v_rcp_f64_e32 v[31:32], v[21:22]
	v_rcp_f64_e32 v[33:34], v[29:30]
	s_waitcnt_depctr 0xfff
	v_fma_f64 v[35:36], -v[21:22], v[31:32], 1.0
	v_fma_f64 v[37:38], -v[29:30], v[33:34], 1.0
	s_delay_alu instid0(VALU_DEP_2) | instskip(NEXT) | instid1(VALU_DEP_2)
	v_fma_f64 v[31:32], v[31:32], v[35:36], v[31:32]
	v_fma_f64 v[33:34], v[33:34], v[37:38], v[33:34]
	s_delay_alu instid0(VALU_DEP_2) | instskip(NEXT) | instid1(VALU_DEP_2)
	v_fma_f64 v[35:36], -v[21:22], v[31:32], 1.0
	v_fma_f64 v[37:38], -v[29:30], v[33:34], 1.0
	s_delay_alu instid0(VALU_DEP_2) | instskip(SKIP_1) | instid1(VALU_DEP_3)
	v_fma_f64 v[31:32], v[31:32], v[35:36], v[31:32]
	v_div_scale_f64 v[35:36], s3, v[23:24], v[11:12], v[23:24]
	v_fma_f64 v[33:34], v[33:34], v[37:38], v[33:34]
	s_delay_alu instid0(VALU_DEP_3) | instskip(NEXT) | instid1(VALU_DEP_2)
	v_mul_f64 v[37:38], v[39:40], v[31:32]
	v_mul_f64 v[41:42], v[35:36], v[33:34]
	s_delay_alu instid0(VALU_DEP_2) | instskip(NEXT) | instid1(VALU_DEP_2)
	v_fma_f64 v[21:22], -v[21:22], v[37:38], v[39:40]
	v_fma_f64 v[29:30], -v[29:30], v[41:42], v[35:36]
	s_delay_alu instid0(VALU_DEP_2) | instskip(SKIP_1) | instid1(VALU_DEP_2)
	v_div_fmas_f64 v[21:22], v[21:22], v[31:32], v[37:38]
	s_mov_b32 vcc_lo, s3
	v_div_fmas_f64 v[29:30], v[29:30], v[33:34], v[41:42]
	s_delay_alu instid0(VALU_DEP_2)
	v_div_fixup_f64 v[7:8], v[21:22], v[7:8], v[19:20]
	ds_load_2addr_stride64_b64 v[19:22], v43 offset0:41 offset1:43
	v_div_fixup_f64 v[11:12], v[29:30], v[11:12], v[23:24]
	s_waitcnt lgkmcnt(0)
	v_fma_f64 v[23:24], -v[7:8], v[19:20], v[25:26]
	v_fma_f64 v[25:26], -v[7:8], v[21:22], v[27:28]
	ds_load_2addr_stride64_b64 v[19:22], v44 offset0:42 offset1:44
	v_mul_f64 v[5:6], v[7:8], -v[5:6]
	v_fma_f64 v[7:8], -v[11:12], v[9:10], v[23:24]
	s_waitcnt lgkmcnt(0)
	v_fma_f64 v[9:10], -v[11:12], v[21:22], v[25:26]
	v_mul_f64 v[11:12], v[11:12], -v[19:20]
.LBB29_26:
	s_or_b32 exec_lo, exec_lo, s4
	s_barrier
	buffer_gl0_inv
	s_and_saveexec_b32 s3, s2
	s_cbranch_execz .LBB29_28
; %bb.27:
	ds_store_b64 v15, v[9:10]
	ds_store_b64 v16, v[5:6]
	;; [unrolled: 1-line block ×4, first 2 shown]
.LBB29_28:
	s_or_b32 exec_lo, exec_lo, s3
	s_delay_alu instid0(SALU_CYCLE_1)
	s_mov_b32 s3, exec_lo
	s_waitcnt lgkmcnt(0)
	s_barrier
	buffer_gl0_inv
	v_cmpx_gt_u32_e32 32, v0
	s_cbranch_execz .LBB29_30
; %bb.29:
	ds_load_b64 v[18:19], v18
	ds_load_b64 v[20:21], v16 offset:256
	ds_load_2addr_b64 v[5:8], v17 offset1:32
	s_waitcnt lgkmcnt(1)
	v_mul_f64 v[9:10], v[18:19], v[20:21]
	s_waitcnt lgkmcnt(0)
	s_delay_alu instid0(VALU_DEP_1) | instskip(NEXT) | instid1(VALU_DEP_1)
	v_fma_f64 v[16:17], v[7:8], v[5:6], -v[9:10]
	v_div_scale_f64 v[9:10], null, v[16:17], v[16:17], 1.0
	v_div_scale_f64 v[24:25], vcc_lo, 1.0, v[16:17], 1.0
	s_delay_alu instid0(VALU_DEP_2) | instskip(SKIP_2) | instid1(VALU_DEP_1)
	v_rcp_f64_e32 v[11:12], v[9:10]
	s_waitcnt_depctr 0xfff
	v_fma_f64 v[22:23], -v[9:10], v[11:12], 1.0
	v_fma_f64 v[11:12], v[11:12], v[22:23], v[11:12]
	s_delay_alu instid0(VALU_DEP_1) | instskip(NEXT) | instid1(VALU_DEP_1)
	v_fma_f64 v[22:23], -v[9:10], v[11:12], 1.0
	v_fma_f64 v[22:23], v[11:12], v[22:23], v[11:12]
	s_delay_alu instid0(VALU_DEP_1) | instskip(NEXT) | instid1(VALU_DEP_1)
	v_mul_f64 v[26:27], v[24:25], v[22:23]
	v_fma_f64 v[24:25], -v[9:10], v[26:27], v[24:25]
	ds_load_2addr_b64 v[9:12], v15 offset1:32
	s_waitcnt lgkmcnt(0)
	v_mul_f64 v[18:19], v[18:19], v[11:12]
	v_mul_f64 v[20:21], v[20:21], v[9:10]
	v_div_fmas_f64 v[22:23], v[24:25], v[22:23], v[26:27]
	s_delay_alu instid0(VALU_DEP_3) | instskip(NEXT) | instid1(VALU_DEP_3)
	v_fma_f64 v[7:8], v[7:8], v[9:10], -v[18:19]
	v_fma_f64 v[5:6], v[5:6], v[11:12], -v[20:21]
	s_delay_alu instid0(VALU_DEP_3) | instskip(NEXT) | instid1(VALU_DEP_1)
	v_div_fixup_f64 v[9:10], v[22:23], v[16:17], 1.0
	v_mul_f64 v[7:8], v[9:10], v[7:8]
	s_delay_alu instid0(VALU_DEP_3)
	v_mul_f64 v[5:6], v[9:10], v[5:6]
	v_add_nc_u32_e32 v9, 0x5000, v13
	ds_store_2addr_b64 v9, v[7:8], v[5:6] offset0:192 offset1:224
.LBB29_30:
	s_or_b32 exec_lo, exec_lo, s3
	s_waitcnt lgkmcnt(0)
	s_barrier
	buffer_gl0_inv
	s_and_saveexec_b32 s3, s2
	s_cbranch_execz .LBB29_32
; %bb.31:
	ds_load_b64 v[5:6], v13 offset:22016
	s_waitcnt lgkmcnt(0)
	ds_store_b64 v14, v[5:6] offset:12280
.LBB29_32:
	s_or_b32 exec_lo, exec_lo, s3
	s_waitcnt lgkmcnt(0)
	s_barrier
	buffer_gl0_inv
	s_and_saveexec_b32 s3, s2
	s_cbranch_execz .LBB29_38
; %bb.33:
	v_lshlrev_b32_e32 v7, 3, v13
	s_mov_b32 s2, exec_lo
                                        ; implicit-def: $vgpr5_vgpr6
	v_cmpx_ne_u32_e32 0, v0
	s_xor_b32 s2, exec_lo, s2
	s_cbranch_execz .LBB29_35
; %bb.34:
	ds_load_b64 v[5:6], v7 offset:24
	ds_load_b64 v[8:9], v7 offset:16408
	;; [unrolled: 1-line block ×3, first 2 shown]
	s_waitcnt lgkmcnt(0)
	v_fma_f64 v[5:6], -v[5:6], v[10:11], v[8:9]
.LBB29_35:
	s_and_not1_saveexec_b32 s2, s2
	s_cbranch_execz .LBB29_37
; %bb.36:
	ds_load_b64 v[5:6], v7 offset:16408
.LBB29_37:
	s_or_b32 exec_lo, exec_lo, s2
	v_add_nc_u32_e32 v8, 24, v7
	ds_load_b64 v[14:15], v7 offset:12344
	ds_load_2addr_stride64_b64 v[8:11], v8 offset0:8 offset1:16
	s_waitcnt lgkmcnt(0)
	v_fma_f64 v[5:6], -v[10:11], v[14:15], v[5:6]
	s_delay_alu instid0(VALU_DEP_1) | instskip(NEXT) | instid1(VALU_DEP_1)
	v_div_scale_f64 v[10:11], null, v[8:9], v[8:9], v[5:6]
	v_rcp_f64_e32 v[14:15], v[10:11]
	s_waitcnt_depctr 0xfff
	v_fma_f64 v[16:17], -v[10:11], v[14:15], 1.0
	s_delay_alu instid0(VALU_DEP_1) | instskip(NEXT) | instid1(VALU_DEP_1)
	v_fma_f64 v[14:15], v[14:15], v[16:17], v[14:15]
	v_fma_f64 v[16:17], -v[10:11], v[14:15], 1.0
	s_delay_alu instid0(VALU_DEP_1) | instskip(SKIP_1) | instid1(VALU_DEP_1)
	v_fma_f64 v[14:15], v[14:15], v[16:17], v[14:15]
	v_div_scale_f64 v[16:17], vcc_lo, v[5:6], v[8:9], v[5:6]
	v_mul_f64 v[18:19], v[16:17], v[14:15]
	s_delay_alu instid0(VALU_DEP_1) | instskip(NEXT) | instid1(VALU_DEP_1)
	v_fma_f64 v[10:11], -v[10:11], v[18:19], v[16:17]
	v_div_fmas_f64 v[10:11], v[10:11], v[14:15], v[18:19]
	s_delay_alu instid0(VALU_DEP_1)
	v_div_fixup_f64 v[5:6], v[10:11], v[8:9], v[5:6]
	ds_store_b64 v7, v[5:6] offset:12312
.LBB29_38:
	s_or_b32 exec_lo, exec_lo, s3
	s_waitcnt lgkmcnt(0)
	s_barrier
	buffer_gl0_inv
	s_and_saveexec_b32 s2, s1
	s_cbranch_execz .LBB29_44
; %bb.39:
	v_lshlrev_b32_e32 v5, 2, v0
	s_mov_b32 s1, exec_lo
	s_delay_alu instid0(VALU_DEP_1)
	v_lshlrev_b32_e32 v7, 3, v5
                                        ; implicit-def: $vgpr5_vgpr6
	v_cmpx_ne_u32_e32 0, v0
	s_xor_b32 s1, exec_lo, s1
	s_cbranch_execz .LBB29_41
; %bb.40:
	ds_load_b64 v[5:6], v7 offset:8
	ds_load_b64 v[8:9], v7 offset:16392
	;; [unrolled: 1-line block ×3, first 2 shown]
	s_waitcnt lgkmcnt(0)
	v_fma_f64 v[5:6], -v[5:6], v[10:11], v[8:9]
.LBB29_41:
	s_and_not1_saveexec_b32 s1, s1
	s_cbranch_execz .LBB29_43
; %bb.42:
	ds_load_b64 v[5:6], v7 offset:16392
.LBB29_43:
	s_or_b32 exec_lo, exec_lo, s1
	v_add_nc_u32_e32 v8, 8, v7
	ds_load_b64 v[14:15], v7 offset:12312
	ds_load_2addr_stride64_b64 v[8:11], v8 offset0:8 offset1:16
	s_waitcnt lgkmcnt(0)
	v_fma_f64 v[5:6], -v[10:11], v[14:15], v[5:6]
	s_delay_alu instid0(VALU_DEP_1) | instskip(NEXT) | instid1(VALU_DEP_1)
	v_div_scale_f64 v[10:11], null, v[8:9], v[8:9], v[5:6]
	v_rcp_f64_e32 v[14:15], v[10:11]
	s_waitcnt_depctr 0xfff
	v_fma_f64 v[16:17], -v[10:11], v[14:15], 1.0
	s_delay_alu instid0(VALU_DEP_1) | instskip(NEXT) | instid1(VALU_DEP_1)
	v_fma_f64 v[14:15], v[14:15], v[16:17], v[14:15]
	v_fma_f64 v[16:17], -v[10:11], v[14:15], 1.0
	s_delay_alu instid0(VALU_DEP_1) | instskip(SKIP_1) | instid1(VALU_DEP_1)
	v_fma_f64 v[14:15], v[14:15], v[16:17], v[14:15]
	v_div_scale_f64 v[16:17], vcc_lo, v[5:6], v[8:9], v[5:6]
	v_mul_f64 v[18:19], v[16:17], v[14:15]
	s_delay_alu instid0(VALU_DEP_1) | instskip(NEXT) | instid1(VALU_DEP_1)
	v_fma_f64 v[10:11], -v[10:11], v[18:19], v[16:17]
	v_div_fmas_f64 v[10:11], v[10:11], v[14:15], v[18:19]
	s_delay_alu instid0(VALU_DEP_1)
	v_div_fixup_f64 v[5:6], v[10:11], v[8:9], v[5:6]
	ds_store_b64 v7, v[5:6] offset:12296
.LBB29_44:
	s_or_b32 exec_lo, exec_lo, s2
	s_waitcnt lgkmcnt(0)
	s_barrier
	buffer_gl0_inv
	s_and_saveexec_b32 s1, s0
	s_cbranch_execz .LBB29_50
; %bb.45:
	v_lshlrev_b32_e32 v5, 1, v0
	v_cmp_ne_u32_e32 vcc_lo, 0, v0
	s_delay_alu instid0(VALU_DEP_2) | instskip(SKIP_1) | instid1(SALU_CYCLE_1)
	v_lshlrev_b32_e32 v0, 3, v5
                                        ; implicit-def: $vgpr5_vgpr6
	s_and_saveexec_b32 s0, vcc_lo
	s_xor_b32 s0, exec_lo, s0
	s_cbranch_execz .LBB29_47
; %bb.46:
	ds_load_b64 v[5:6], v0
	ds_load_b64 v[7:8], v0 offset:16384
	ds_load_b64 v[9:10], v0 offset:12280
	s_waitcnt lgkmcnt(0)
	v_fma_f64 v[5:6], -v[5:6], v[9:10], v[7:8]
.LBB29_47:
	s_and_not1_saveexec_b32 s0, s0
	s_cbranch_execz .LBB29_49
; %bb.48:
	ds_load_b64 v[5:6], v0 offset:16384
.LBB29_49:
	s_or_b32 exec_lo, exec_lo, s0
	ds_load_2addr_stride64_b64 v[7:10], v0 offset0:8 offset1:16
	ds_load_b64 v[11:12], v0 offset:12296
	s_waitcnt lgkmcnt(0)
	v_fma_f64 v[5:6], -v[9:10], v[11:12], v[5:6]
	s_delay_alu instid0(VALU_DEP_1) | instskip(NEXT) | instid1(VALU_DEP_1)
	v_div_scale_f64 v[9:10], null, v[7:8], v[7:8], v[5:6]
	v_rcp_f64_e32 v[11:12], v[9:10]
	s_waitcnt_depctr 0xfff
	v_fma_f64 v[14:15], -v[9:10], v[11:12], 1.0
	s_delay_alu instid0(VALU_DEP_1) | instskip(NEXT) | instid1(VALU_DEP_1)
	v_fma_f64 v[11:12], v[11:12], v[14:15], v[11:12]
	v_fma_f64 v[14:15], -v[9:10], v[11:12], 1.0
	s_delay_alu instid0(VALU_DEP_1) | instskip(SKIP_1) | instid1(VALU_DEP_1)
	v_fma_f64 v[11:12], v[11:12], v[14:15], v[11:12]
	v_div_scale_f64 v[14:15], vcc_lo, v[5:6], v[7:8], v[5:6]
	v_mul_f64 v[16:17], v[14:15], v[11:12]
	s_delay_alu instid0(VALU_DEP_1) | instskip(NEXT) | instid1(VALU_DEP_1)
	v_fma_f64 v[9:10], -v[9:10], v[16:17], v[14:15]
	v_div_fmas_f64 v[9:10], v[9:10], v[11:12], v[16:17]
	s_delay_alu instid0(VALU_DEP_1)
	v_div_fixup_f64 v[5:6], v[9:10], v[7:8], v[5:6]
	ds_store_b64 v0, v[5:6] offset:12288
.LBB29_50:
	s_or_b32 exec_lo, exec_lo, s1
	s_waitcnt lgkmcnt(0)
	s_barrier
	buffer_gl0_inv
	ds_load_2addr_stride64_b64 v[5:8], v13 offset0:24 offset1:28
	s_waitcnt lgkmcnt(0)
	s_clause 0x1
	global_store_b64 v[1:2], v[5:6], off
	global_store_b64 v[3:4], v[7:8], off
	s_nop 0
	s_sendmsg sendmsg(MSG_DEALLOC_VGPRS)
	s_endpgm
	.section	.rodata,"a",@progbits
	.p2align	6, 0x0
	.amdhsa_kernel _ZN9rocsparseL51gtsv_nopivot_strided_batch_crpcr_pow2_shared_kernelILj256ELj64EdEEviiiPKT1_S3_S3_PS1_
		.amdhsa_group_segment_fixed_size 23040
		.amdhsa_private_segment_fixed_size 0
		.amdhsa_kernarg_size 48
		.amdhsa_user_sgpr_count 15
		.amdhsa_user_sgpr_dispatch_ptr 0
		.amdhsa_user_sgpr_queue_ptr 0
		.amdhsa_user_sgpr_kernarg_segment_ptr 1
		.amdhsa_user_sgpr_dispatch_id 0
		.amdhsa_user_sgpr_private_segment_size 0
		.amdhsa_wavefront_size32 1
		.amdhsa_uses_dynamic_stack 0
		.amdhsa_enable_private_segment 0
		.amdhsa_system_sgpr_workgroup_id_x 1
		.amdhsa_system_sgpr_workgroup_id_y 0
		.amdhsa_system_sgpr_workgroup_id_z 0
		.amdhsa_system_sgpr_workgroup_info 0
		.amdhsa_system_vgpr_workitem_id 0
		.amdhsa_next_free_vgpr 46
		.amdhsa_next_free_sgpr 16
		.amdhsa_reserve_vcc 1
		.amdhsa_float_round_mode_32 0
		.amdhsa_float_round_mode_16_64 0
		.amdhsa_float_denorm_mode_32 3
		.amdhsa_float_denorm_mode_16_64 3
		.amdhsa_dx10_clamp 1
		.amdhsa_ieee_mode 1
		.amdhsa_fp16_overflow 0
		.amdhsa_workgroup_processor_mode 1
		.amdhsa_memory_ordered 1
		.amdhsa_forward_progress 0
		.amdhsa_shared_vgpr_count 0
		.amdhsa_exception_fp_ieee_invalid_op 0
		.amdhsa_exception_fp_denorm_src 0
		.amdhsa_exception_fp_ieee_div_zero 0
		.amdhsa_exception_fp_ieee_overflow 0
		.amdhsa_exception_fp_ieee_underflow 0
		.amdhsa_exception_fp_ieee_inexact 0
		.amdhsa_exception_int_div_zero 0
	.end_amdhsa_kernel
	.section	.text._ZN9rocsparseL51gtsv_nopivot_strided_batch_crpcr_pow2_shared_kernelILj256ELj64EdEEviiiPKT1_S3_S3_PS1_,"axG",@progbits,_ZN9rocsparseL51gtsv_nopivot_strided_batch_crpcr_pow2_shared_kernelILj256ELj64EdEEviiiPKT1_S3_S3_PS1_,comdat
.Lfunc_end29:
	.size	_ZN9rocsparseL51gtsv_nopivot_strided_batch_crpcr_pow2_shared_kernelILj256ELj64EdEEviiiPKT1_S3_S3_PS1_, .Lfunc_end29-_ZN9rocsparseL51gtsv_nopivot_strided_batch_crpcr_pow2_shared_kernelILj256ELj64EdEEviiiPKT1_S3_S3_PS1_
                                        ; -- End function
	.section	.AMDGPU.csdata,"",@progbits
; Kernel info:
; codeLenInByte = 5200
; NumSgprs: 18
; NumVgprs: 46
; ScratchSize: 0
; MemoryBound: 0
; FloatMode: 240
; IeeeMode: 1
; LDSByteSize: 23040 bytes/workgroup (compile time only)
; SGPRBlocks: 2
; VGPRBlocks: 5
; NumSGPRsForWavesPerEU: 18
; NumVGPRsForWavesPerEU: 46
; Occupancy: 10
; WaveLimiterHint : 0
; COMPUTE_PGM_RSRC2:SCRATCH_EN: 0
; COMPUTE_PGM_RSRC2:USER_SGPR: 15
; COMPUTE_PGM_RSRC2:TRAP_HANDLER: 0
; COMPUTE_PGM_RSRC2:TGID_X_EN: 1
; COMPUTE_PGM_RSRC2:TGID_Y_EN: 0
; COMPUTE_PGM_RSRC2:TGID_Z_EN: 0
; COMPUTE_PGM_RSRC2:TIDIG_COMP_CNT: 0
	.section	.text._ZN9rocsparseL44gtsv_nopivot_strided_batch_pcr_shared_kernelILj4EdEEviiiPKT0_S3_S3_PS1_,"axG",@progbits,_ZN9rocsparseL44gtsv_nopivot_strided_batch_pcr_shared_kernelILj4EdEEviiiPKT0_S3_S3_PS1_,comdat
	.globl	_ZN9rocsparseL44gtsv_nopivot_strided_batch_pcr_shared_kernelILj4EdEEviiiPKT0_S3_S3_PS1_ ; -- Begin function _ZN9rocsparseL44gtsv_nopivot_strided_batch_pcr_shared_kernelILj4EdEEviiiPKT0_S3_S3_PS1_
	.p2align	8
	.type	_ZN9rocsparseL44gtsv_nopivot_strided_batch_pcr_shared_kernelILj4EdEEviiiPKT0_S3_S3_PS1_,@function
_ZN9rocsparseL44gtsv_nopivot_strided_batch_pcr_shared_kernelILj4EdEEviiiPKT0_S3_S3_PS1_: ; @_ZN9rocsparseL44gtsv_nopivot_strided_batch_pcr_shared_kernelILj4EdEEviiiPKT0_S3_S3_PS1_
; %bb.0:
	s_clause 0x1
	s_load_b32 s2, s[0:1], 0x8
	s_load_b32 s3, s[0:1], 0x0
	v_mov_b32_e32 v5, 0
	v_mov_b32_e32 v6, 0
	s_delay_alu instid0(VALU_DEP_1) | instskip(SKIP_3) | instid1(VALU_DEP_2)
	v_dual_mov_b32 v3, v5 :: v_dual_mov_b32 v4, v6
	s_waitcnt lgkmcnt(0)
	v_mad_u64_u32 v[1:2], null, s15, s2, v[0:1]
	v_cmp_gt_i32_e64 s2, s3, v0
	v_ashrrev_i32_e32 v2, 31, v1
	s_delay_alu instid0(VALU_DEP_2)
	s_and_saveexec_b32 s4, s2
	s_cbranch_execz .LBB30_2
; %bb.1:
	s_load_b64 s[6:7], s[0:1], 0x10
	s_delay_alu instid0(VALU_DEP_1) | instskip(SKIP_1) | instid1(VALU_DEP_1)
	v_lshlrev_b64 v[3:4], 3, v[1:2]
	s_waitcnt lgkmcnt(0)
	v_add_co_u32 v3, vcc_lo, s6, v3
	s_delay_alu instid0(VALU_DEP_2)
	v_add_co_ci_u32_e32 v4, vcc_lo, s7, v4, vcc_lo
	global_load_b64 v[3:4], v[3:4], off
.LBB30_2:
	s_or_b32 exec_lo, exec_lo, s4
	v_lshlrev_b32_e32 v9, 3, v0
	s_waitcnt vmcnt(0)
	ds_store_b64 v9, v[3:4]
	s_and_saveexec_b32 s4, s2
	s_cbranch_execz .LBB30_4
; %bb.3:
	s_load_b64 s[6:7], s[0:1], 0x18
	v_lshlrev_b64 v[3:4], 3, v[1:2]
	s_waitcnt lgkmcnt(0)
	s_delay_alu instid0(VALU_DEP_1) | instskip(NEXT) | instid1(VALU_DEP_2)
	v_add_co_u32 v3, vcc_lo, s6, v3
	v_add_co_ci_u32_e32 v4, vcc_lo, s7, v4, vcc_lo
	global_load_b64 v[5:6], v[3:4], off
.LBB30_4:
	s_or_b32 exec_lo, exec_lo, s4
	s_load_b64 s[4:5], s[0:1], 0x28
	v_mov_b32_e32 v3, 0
	v_mov_b32_e32 v4, 0
	s_waitcnt vmcnt(0)
	ds_store_b64 v9, v[5:6] offset:32
	v_dual_mov_b32 v8, v4 :: v_dual_mov_b32 v7, v3
	s_and_saveexec_b32 s6, s2
	s_cbranch_execz .LBB30_6
; %bb.5:
	s_load_b64 s[0:1], s[0:1], 0x20
	v_lshlrev_b64 v[5:6], 3, v[1:2]
	s_waitcnt lgkmcnt(0)
	s_delay_alu instid0(VALU_DEP_1) | instskip(NEXT) | instid1(VALU_DEP_2)
	v_add_co_u32 v5, vcc_lo, s0, v5
	v_add_co_ci_u32_e32 v6, vcc_lo, s1, v6, vcc_lo
	global_load_b64 v[7:8], v[5:6], off
.LBB30_6:
	s_or_b32 exec_lo, exec_lo, s6
	v_or_b32_e32 v5, 32, v9
	v_or_b32_e32 v6, 64, v9
	s_waitcnt vmcnt(0)
	ds_store_b64 v9, v[7:8] offset:64
	s_and_saveexec_b32 s0, s2
	s_cbranch_execz .LBB30_8
; %bb.7:
	v_lshlrev_b64 v[3:4], 3, v[1:2]
	s_waitcnt lgkmcnt(0)
	s_delay_alu instid0(VALU_DEP_1) | instskip(NEXT) | instid1(VALU_DEP_2)
	v_add_co_u32 v3, vcc_lo, s4, v3
	v_add_co_ci_u32_e32 v4, vcc_lo, s5, v4, vcc_lo
	global_load_b64 v[3:4], v[3:4], off
.LBB30_8:
	s_or_b32 exec_lo, exec_lo, s0
	v_max_u32_e32 v7, 1, v0
	s_waitcnt vmcnt(0)
	ds_store_b64 v9, v[3:4] offset:128
	s_waitcnt vmcnt(0) lgkmcnt(0)
	s_waitcnt_vscnt null, 0x0
	; wave barrier
	s_waitcnt lgkmcnt(0)
	buffer_gl0_inv
	v_add_nc_u32_e32 v16, 1, v0
	v_lshlrev_b32_e32 v14, 3, v7
	s_add_i32 s0, s3, -1
	ds_load_2addr_b64 v[10:13], v14 offset0:3 offset1:7
	ds_load_b64 v[3:4], v9
	v_cmp_gt_i32_e32 vcc_lo, s3, v16
	v_add_nc_u32_e32 v15, -8, v14
	ds_load_b64 v[7:8], v9 offset:128
	ds_load_b64 v[18:19], v14 offset:120
	ds_load_b64 v[20:21], v15
	v_cndmask_b32_e32 v14, s0, v16, vcc_lo
	s_delay_alu instid0(VALU_DEP_1)
	v_lshlrev_b32_e32 v42, 3, v14
	ds_load_2addr_b64 v[14:17], v42 offset1:4
	ds_load_b64 v[24:25], v6
	ds_load_b64 v[26:27], v5
	s_waitcnt lgkmcnt(6)
	v_div_scale_f64 v[22:23], null, v[10:11], v[10:11], v[3:4]
	v_div_scale_f64 v[38:39], vcc_lo, v[3:4], v[10:11], v[3:4]
	s_waitcnt lgkmcnt(1)
	v_div_scale_f64 v[28:29], null, v[16:17], v[16:17], v[24:25]
	s_delay_alu instid0(VALU_DEP_3) | instskip(NEXT) | instid1(VALU_DEP_1)
	v_rcp_f64_e32 v[30:31], v[22:23]
	v_rcp_f64_e32 v[32:33], v[28:29]
	s_waitcnt_depctr 0xfff
	v_fma_f64 v[34:35], -v[22:23], v[30:31], 1.0
	v_fma_f64 v[36:37], -v[28:29], v[32:33], 1.0
	s_delay_alu instid0(VALU_DEP_2) | instskip(NEXT) | instid1(VALU_DEP_2)
	v_fma_f64 v[30:31], v[30:31], v[34:35], v[30:31]
	v_fma_f64 v[32:33], v[32:33], v[36:37], v[32:33]
	s_delay_alu instid0(VALU_DEP_2) | instskip(NEXT) | instid1(VALU_DEP_2)
	v_fma_f64 v[34:35], -v[22:23], v[30:31], 1.0
	v_fma_f64 v[36:37], -v[28:29], v[32:33], 1.0
	s_delay_alu instid0(VALU_DEP_2) | instskip(SKIP_1) | instid1(VALU_DEP_3)
	v_fma_f64 v[30:31], v[30:31], v[34:35], v[30:31]
	v_div_scale_f64 v[34:35], s0, v[24:25], v[16:17], v[24:25]
	v_fma_f64 v[32:33], v[32:33], v[36:37], v[32:33]
	s_delay_alu instid0(VALU_DEP_3) | instskip(NEXT) | instid1(VALU_DEP_2)
	v_mul_f64 v[36:37], v[38:39], v[30:31]
	v_mul_f64 v[40:41], v[34:35], v[32:33]
	s_delay_alu instid0(VALU_DEP_2) | instskip(NEXT) | instid1(VALU_DEP_2)
	v_fma_f64 v[22:23], -v[22:23], v[36:37], v[38:39]
	v_fma_f64 v[28:29], -v[28:29], v[40:41], v[34:35]
	s_delay_alu instid0(VALU_DEP_2) | instskip(SKIP_2) | instid1(VALU_DEP_2)
	v_div_fmas_f64 v[22:23], v[22:23], v[30:31], v[36:37]
	s_mov_b32 vcc_lo, s0
	s_mov_b32 s0, exec_lo
	v_div_fmas_f64 v[28:29], v[28:29], v[32:33], v[40:41]
	s_delay_alu instid0(VALU_DEP_2) | instskip(NEXT) | instid1(VALU_DEP_2)
	v_div_fixup_f64 v[3:4], v[22:23], v[10:11], v[3:4]
	v_div_fixup_f64 v[16:17], v[28:29], v[16:17], v[24:25]
	s_delay_alu instid0(VALU_DEP_2)
	v_fma_f64 v[7:8], -v[3:4], v[18:19], v[7:8]
	s_waitcnt lgkmcnt(0)
	v_fma_f64 v[18:19], -v[3:4], v[12:13], v[26:27]
	ds_load_2addr_b64 v[10:13], v42 offset0:8 offset1:16
	v_mul_f64 v[3:4], v[3:4], -v[20:21]
	s_waitcnt vmcnt(0) lgkmcnt(0)
	s_waitcnt_vscnt null, 0x0
	; wave barrier
	s_waitcnt lgkmcnt(0)
	buffer_gl0_inv
	v_mul_f64 v[10:11], v[16:17], -v[10:11]
	v_fma_f64 v[7:8], -v[16:17], v[12:13], v[7:8]
	v_fma_f64 v[12:13], -v[16:17], v[14:15], v[18:19]
	ds_store_b64 v9, v[7:8] offset:128
	ds_store_b64 v9, v[3:4]
	ds_store_b64 v5, v[12:13]
	;; [unrolled: 1-line block ×3, first 2 shown]
	s_waitcnt vmcnt(0) lgkmcnt(0)
	s_waitcnt_vscnt null, 0x0
	; wave barrier
	s_waitcnt lgkmcnt(0)
	buffer_gl0_inv
	v_cmpx_gt_u32_e32 2, v0
	s_cbranch_execz .LBB30_14
; %bb.9:
	v_or_b32_e32 v7, 2, v0
	v_or_b32_e32 v8, 0x80, v9
	s_mov_b32 s1, exec_lo
                                        ; implicit-def: $vgpr3_vgpr4
	s_delay_alu instid0(VALU_DEP_2)
	v_cmpx_le_i32_e64 s3, v7
	s_xor_b32 s1, exec_lo, s1
	s_cbranch_execz .LBB30_11
; %bb.10:
	ds_load_b64 v[3:4], v8
	ds_load_b64 v[5:6], v5
	s_waitcnt lgkmcnt(0)
	v_div_scale_f64 v[7:8], null, v[5:6], v[5:6], v[3:4]
	s_delay_alu instid0(VALU_DEP_1) | instskip(SKIP_2) | instid1(VALU_DEP_1)
	v_rcp_f64_e32 v[10:11], v[7:8]
	s_waitcnt_depctr 0xfff
	v_fma_f64 v[12:13], -v[7:8], v[10:11], 1.0
	v_fma_f64 v[10:11], v[10:11], v[12:13], v[10:11]
	s_delay_alu instid0(VALU_DEP_1) | instskip(NEXT) | instid1(VALU_DEP_1)
	v_fma_f64 v[12:13], -v[7:8], v[10:11], 1.0
	v_fma_f64 v[10:11], v[10:11], v[12:13], v[10:11]
	v_div_scale_f64 v[12:13], vcc_lo, v[3:4], v[5:6], v[3:4]
	s_delay_alu instid0(VALU_DEP_1) | instskip(NEXT) | instid1(VALU_DEP_1)
	v_mul_f64 v[14:15], v[12:13], v[10:11]
	v_fma_f64 v[7:8], -v[7:8], v[14:15], v[12:13]
	s_delay_alu instid0(VALU_DEP_1) | instskip(NEXT) | instid1(VALU_DEP_1)
	v_div_fmas_f64 v[7:8], v[7:8], v[10:11], v[14:15]
	v_div_fixup_f64 v[3:4], v[7:8], v[5:6], v[3:4]
                                        ; implicit-def: $vgpr5
                                        ; implicit-def: $vgpr6
                                        ; implicit-def: $vgpr8
                                        ; implicit-def: $vgpr7
.LBB30_11:
	s_and_not1_saveexec_b32 s1, s1
	s_cbranch_execz .LBB30_13
; %bb.12:
	ds_load_b64 v[14:15], v6
	ds_load_b64 v[16:17], v9 offset:16
	ds_load_2addr_b64 v[3:6], v5 offset1:2
	v_mov_b32_e32 v0, v7
	s_waitcnt lgkmcnt(1)
	v_mul_f64 v[10:11], v[14:15], v[16:17]
	s_waitcnt lgkmcnt(0)
	s_delay_alu instid0(VALU_DEP_1) | instskip(NEXT) | instid1(VALU_DEP_1)
	v_fma_f64 v[18:19], v[5:6], v[3:4], -v[10:11]
	v_div_scale_f64 v[10:11], null, v[18:19], v[18:19], 1.0
	v_div_scale_f64 v[22:23], vcc_lo, 1.0, v[18:19], 1.0
	s_delay_alu instid0(VALU_DEP_2) | instskip(SKIP_2) | instid1(VALU_DEP_1)
	v_rcp_f64_e32 v[12:13], v[10:11]
	s_waitcnt_depctr 0xfff
	v_fma_f64 v[20:21], -v[10:11], v[12:13], 1.0
	v_fma_f64 v[12:13], v[12:13], v[20:21], v[12:13]
	s_delay_alu instid0(VALU_DEP_1) | instskip(NEXT) | instid1(VALU_DEP_1)
	v_fma_f64 v[20:21], -v[10:11], v[12:13], 1.0
	v_fma_f64 v[20:21], v[12:13], v[20:21], v[12:13]
	s_delay_alu instid0(VALU_DEP_1) | instskip(NEXT) | instid1(VALU_DEP_1)
	v_mul_f64 v[24:25], v[22:23], v[20:21]
	v_fma_f64 v[22:23], -v[10:11], v[24:25], v[22:23]
	ds_load_2addr_b64 v[10:13], v8 offset1:2
	s_waitcnt lgkmcnt(0)
	v_mul_f64 v[14:15], v[14:15], v[12:13]
	v_mul_f64 v[16:17], v[16:17], v[10:11]
	v_div_fmas_f64 v[20:21], v[22:23], v[20:21], v[24:25]
	s_delay_alu instid0(VALU_DEP_3) | instskip(NEXT) | instid1(VALU_DEP_3)
	v_fma_f64 v[5:6], v[5:6], v[10:11], -v[14:15]
	v_fma_f64 v[3:4], v[3:4], v[12:13], -v[16:17]
	s_delay_alu instid0(VALU_DEP_3) | instskip(NEXT) | instid1(VALU_DEP_1)
	v_div_fixup_f64 v[18:19], v[20:21], v[18:19], 1.0
	v_mul_f64 v[5:6], v[18:19], v[5:6]
	s_delay_alu instid0(VALU_DEP_3)
	v_mul_f64 v[3:4], v[18:19], v[3:4]
	ds_store_b64 v9, v[5:6] offset:96
.LBB30_13:
	s_or_b32 exec_lo, exec_lo, s1
	v_lshlrev_b32_e32 v0, 3, v0
	ds_store_b64 v0, v[3:4] offset:96
.LBB30_14:
	s_or_b32 exec_lo, exec_lo, s0
	s_waitcnt vmcnt(0) lgkmcnt(0)
	s_waitcnt_vscnt null, 0x0
	; wave barrier
	s_waitcnt lgkmcnt(0)
	buffer_gl0_inv
	s_and_saveexec_b32 s0, s2
	s_cbranch_execz .LBB30_16
; %bb.15:
	ds_load_b64 v[3:4], v9 offset:96
	v_lshlrev_b64 v[0:1], 3, v[1:2]
	s_delay_alu instid0(VALU_DEP_1) | instskip(NEXT) | instid1(VALU_DEP_2)
	v_add_co_u32 v0, vcc_lo, s4, v0
	v_add_co_ci_u32_e32 v1, vcc_lo, s5, v1, vcc_lo
	s_waitcnt lgkmcnt(0)
	global_store_b64 v[0:1], v[3:4], off
.LBB30_16:
	s_nop 0
	s_sendmsg sendmsg(MSG_DEALLOC_VGPRS)
	s_endpgm
	.section	.rodata,"a",@progbits
	.p2align	6, 0x0
	.amdhsa_kernel _ZN9rocsparseL44gtsv_nopivot_strided_batch_pcr_shared_kernelILj4EdEEviiiPKT0_S3_S3_PS1_
		.amdhsa_group_segment_fixed_size 160
		.amdhsa_private_segment_fixed_size 0
		.amdhsa_kernarg_size 48
		.amdhsa_user_sgpr_count 15
		.amdhsa_user_sgpr_dispatch_ptr 0
		.amdhsa_user_sgpr_queue_ptr 0
		.amdhsa_user_sgpr_kernarg_segment_ptr 1
		.amdhsa_user_sgpr_dispatch_id 0
		.amdhsa_user_sgpr_private_segment_size 0
		.amdhsa_wavefront_size32 1
		.amdhsa_uses_dynamic_stack 0
		.amdhsa_enable_private_segment 0
		.amdhsa_system_sgpr_workgroup_id_x 1
		.amdhsa_system_sgpr_workgroup_id_y 0
		.amdhsa_system_sgpr_workgroup_id_z 0
		.amdhsa_system_sgpr_workgroup_info 0
		.amdhsa_system_vgpr_workitem_id 0
		.amdhsa_next_free_vgpr 43
		.amdhsa_next_free_sgpr 16
		.amdhsa_reserve_vcc 1
		.amdhsa_float_round_mode_32 0
		.amdhsa_float_round_mode_16_64 0
		.amdhsa_float_denorm_mode_32 3
		.amdhsa_float_denorm_mode_16_64 3
		.amdhsa_dx10_clamp 1
		.amdhsa_ieee_mode 1
		.amdhsa_fp16_overflow 0
		.amdhsa_workgroup_processor_mode 1
		.amdhsa_memory_ordered 1
		.amdhsa_forward_progress 0
		.amdhsa_shared_vgpr_count 0
		.amdhsa_exception_fp_ieee_invalid_op 0
		.amdhsa_exception_fp_denorm_src 0
		.amdhsa_exception_fp_ieee_div_zero 0
		.amdhsa_exception_fp_ieee_overflow 0
		.amdhsa_exception_fp_ieee_underflow 0
		.amdhsa_exception_fp_ieee_inexact 0
		.amdhsa_exception_int_div_zero 0
	.end_amdhsa_kernel
	.section	.text._ZN9rocsparseL44gtsv_nopivot_strided_batch_pcr_shared_kernelILj4EdEEviiiPKT0_S3_S3_PS1_,"axG",@progbits,_ZN9rocsparseL44gtsv_nopivot_strided_batch_pcr_shared_kernelILj4EdEEviiiPKT0_S3_S3_PS1_,comdat
.Lfunc_end30:
	.size	_ZN9rocsparseL44gtsv_nopivot_strided_batch_pcr_shared_kernelILj4EdEEviiiPKT0_S3_S3_PS1_, .Lfunc_end30-_ZN9rocsparseL44gtsv_nopivot_strided_batch_pcr_shared_kernelILj4EdEEviiiPKT0_S3_S3_PS1_
                                        ; -- End function
	.section	.AMDGPU.csdata,"",@progbits
; Kernel info:
; codeLenInByte = 1364
; NumSgprs: 18
; NumVgprs: 43
; ScratchSize: 0
; MemoryBound: 0
; FloatMode: 240
; IeeeMode: 1
; LDSByteSize: 160 bytes/workgroup (compile time only)
; SGPRBlocks: 2
; VGPRBlocks: 5
; NumSGPRsForWavesPerEU: 18
; NumVGPRsForWavesPerEU: 43
; Occupancy: 16
; WaveLimiterHint : 0
; COMPUTE_PGM_RSRC2:SCRATCH_EN: 0
; COMPUTE_PGM_RSRC2:USER_SGPR: 15
; COMPUTE_PGM_RSRC2:TRAP_HANDLER: 0
; COMPUTE_PGM_RSRC2:TGID_X_EN: 1
; COMPUTE_PGM_RSRC2:TGID_Y_EN: 0
; COMPUTE_PGM_RSRC2:TGID_Z_EN: 0
; COMPUTE_PGM_RSRC2:TIDIG_COMP_CNT: 0
	.section	.text._ZN9rocsparseL44gtsv_nopivot_strided_batch_pcr_shared_kernelILj8EdEEviiiPKT0_S3_S3_PS1_,"axG",@progbits,_ZN9rocsparseL44gtsv_nopivot_strided_batch_pcr_shared_kernelILj8EdEEviiiPKT0_S3_S3_PS1_,comdat
	.globl	_ZN9rocsparseL44gtsv_nopivot_strided_batch_pcr_shared_kernelILj8EdEEviiiPKT0_S3_S3_PS1_ ; -- Begin function _ZN9rocsparseL44gtsv_nopivot_strided_batch_pcr_shared_kernelILj8EdEEviiiPKT0_S3_S3_PS1_
	.p2align	8
	.type	_ZN9rocsparseL44gtsv_nopivot_strided_batch_pcr_shared_kernelILj8EdEEviiiPKT0_S3_S3_PS1_,@function
_ZN9rocsparseL44gtsv_nopivot_strided_batch_pcr_shared_kernelILj8EdEEviiiPKT0_S3_S3_PS1_: ; @_ZN9rocsparseL44gtsv_nopivot_strided_batch_pcr_shared_kernelILj8EdEEviiiPKT0_S3_S3_PS1_
; %bb.0:
	s_clause 0x1
	s_load_b32 s2, s[0:1], 0x8
	s_load_b32 s3, s[0:1], 0x0
	v_mov_b32_e32 v5, 0
	v_mov_b32_e32 v6, 0
	s_delay_alu instid0(VALU_DEP_1) | instskip(SKIP_3) | instid1(VALU_DEP_2)
	v_dual_mov_b32 v3, v5 :: v_dual_mov_b32 v4, v6
	s_waitcnt lgkmcnt(0)
	v_mad_u64_u32 v[1:2], null, s15, s2, v[0:1]
	v_cmp_gt_i32_e64 s2, s3, v0
	v_ashrrev_i32_e32 v2, 31, v1
	s_delay_alu instid0(VALU_DEP_2)
	s_and_saveexec_b32 s4, s2
	s_cbranch_execz .LBB31_2
; %bb.1:
	s_load_b64 s[6:7], s[0:1], 0x10
	s_delay_alu instid0(VALU_DEP_1) | instskip(SKIP_1) | instid1(VALU_DEP_1)
	v_lshlrev_b64 v[3:4], 3, v[1:2]
	s_waitcnt lgkmcnt(0)
	v_add_co_u32 v3, vcc_lo, s6, v3
	s_delay_alu instid0(VALU_DEP_2)
	v_add_co_ci_u32_e32 v4, vcc_lo, s7, v4, vcc_lo
	global_load_b64 v[3:4], v[3:4], off
.LBB31_2:
	s_or_b32 exec_lo, exec_lo, s4
	v_lshlrev_b32_e32 v9, 3, v0
	s_waitcnt vmcnt(0)
	ds_store_b64 v9, v[3:4]
	s_and_saveexec_b32 s4, s2
	s_cbranch_execz .LBB31_4
; %bb.3:
	s_load_b64 s[6:7], s[0:1], 0x18
	v_lshlrev_b64 v[3:4], 3, v[1:2]
	s_waitcnt lgkmcnt(0)
	s_delay_alu instid0(VALU_DEP_1) | instskip(NEXT) | instid1(VALU_DEP_2)
	v_add_co_u32 v3, vcc_lo, s6, v3
	v_add_co_ci_u32_e32 v4, vcc_lo, s7, v4, vcc_lo
	global_load_b64 v[5:6], v[3:4], off
.LBB31_4:
	s_or_b32 exec_lo, exec_lo, s4
	s_load_b64 s[4:5], s[0:1], 0x28
	v_mov_b32_e32 v3, 0
	v_mov_b32_e32 v4, 0
	s_waitcnt vmcnt(0)
	ds_store_b64 v9, v[5:6] offset:64
	v_dual_mov_b32 v8, v4 :: v_dual_mov_b32 v7, v3
	s_and_saveexec_b32 s6, s2
	s_cbranch_execz .LBB31_6
; %bb.5:
	s_load_b64 s[0:1], s[0:1], 0x20
	v_lshlrev_b64 v[5:6], 3, v[1:2]
	s_waitcnt lgkmcnt(0)
	s_delay_alu instid0(VALU_DEP_1) | instskip(NEXT) | instid1(VALU_DEP_2)
	v_add_co_u32 v5, vcc_lo, s0, v5
	v_add_co_ci_u32_e32 v6, vcc_lo, s1, v6, vcc_lo
	global_load_b64 v[7:8], v[5:6], off
.LBB31_6:
	s_or_b32 exec_lo, exec_lo, s6
	v_or_b32_e32 v5, 64, v9
	v_or_b32_e32 v6, 0x80, v9
	s_waitcnt vmcnt(0)
	ds_store_b64 v9, v[7:8] offset:128
	s_and_saveexec_b32 s0, s2
	s_cbranch_execz .LBB31_8
; %bb.7:
	v_lshlrev_b64 v[3:4], 3, v[1:2]
	s_waitcnt lgkmcnt(0)
	s_delay_alu instid0(VALU_DEP_1) | instskip(NEXT) | instid1(VALU_DEP_2)
	v_add_co_u32 v3, vcc_lo, s4, v3
	v_add_co_ci_u32_e32 v4, vcc_lo, s5, v4, vcc_lo
	global_load_b64 v[3:4], v[3:4], off
.LBB31_8:
	s_or_b32 exec_lo, exec_lo, s0
	v_max_u32_e32 v7, 1, v0
	s_waitcnt vmcnt(0)
	ds_store_b64 v9, v[3:4] offset:256
	s_waitcnt vmcnt(0) lgkmcnt(0)
	s_waitcnt_vscnt null, 0x0
	; wave barrier
	s_waitcnt lgkmcnt(0)
	buffer_gl0_inv
	v_add_nc_u32_e32 v16, 1, v0
	v_lshlrev_b32_e32 v14, 3, v7
	s_add_i32 s1, s3, -1
	ds_load_2addr_b64 v[10:13], v14 offset0:7 offset1:15
	ds_load_b64 v[3:4], v9
	v_cmp_gt_i32_e32 vcc_lo, s3, v16
	v_add_nc_u32_e32 v15, -8, v14
	ds_load_b64 v[7:8], v9 offset:256
	ds_load_b64 v[18:19], v14 offset:248
	ds_load_b64 v[20:21], v15
	v_cndmask_b32_e32 v14, s1, v16, vcc_lo
	s_delay_alu instid0(VALU_DEP_1)
	v_lshlrev_b32_e32 v42, 3, v14
	ds_load_2addr_b64 v[14:17], v42 offset1:8
	ds_load_b64 v[24:25], v6
	ds_load_b64 v[26:27], v5
	s_waitcnt lgkmcnt(6)
	v_div_scale_f64 v[22:23], null, v[10:11], v[10:11], v[3:4]
	v_div_scale_f64 v[38:39], vcc_lo, v[3:4], v[10:11], v[3:4]
	s_waitcnt lgkmcnt(1)
	v_div_scale_f64 v[28:29], null, v[16:17], v[16:17], v[24:25]
	s_delay_alu instid0(VALU_DEP_3) | instskip(NEXT) | instid1(VALU_DEP_1)
	v_rcp_f64_e32 v[30:31], v[22:23]
	v_rcp_f64_e32 v[32:33], v[28:29]
	s_waitcnt_depctr 0xfff
	v_fma_f64 v[34:35], -v[22:23], v[30:31], 1.0
	v_fma_f64 v[36:37], -v[28:29], v[32:33], 1.0
	s_delay_alu instid0(VALU_DEP_2) | instskip(NEXT) | instid1(VALU_DEP_2)
	v_fma_f64 v[30:31], v[30:31], v[34:35], v[30:31]
	v_fma_f64 v[32:33], v[32:33], v[36:37], v[32:33]
	s_delay_alu instid0(VALU_DEP_2) | instskip(NEXT) | instid1(VALU_DEP_2)
	v_fma_f64 v[34:35], -v[22:23], v[30:31], 1.0
	v_fma_f64 v[36:37], -v[28:29], v[32:33], 1.0
	s_delay_alu instid0(VALU_DEP_2) | instskip(SKIP_1) | instid1(VALU_DEP_3)
	v_fma_f64 v[30:31], v[30:31], v[34:35], v[30:31]
	v_div_scale_f64 v[34:35], s0, v[24:25], v[16:17], v[24:25]
	v_fma_f64 v[32:33], v[32:33], v[36:37], v[32:33]
	s_delay_alu instid0(VALU_DEP_3) | instskip(NEXT) | instid1(VALU_DEP_2)
	v_mul_f64 v[36:37], v[38:39], v[30:31]
	v_mul_f64 v[40:41], v[34:35], v[32:33]
	s_delay_alu instid0(VALU_DEP_2) | instskip(NEXT) | instid1(VALU_DEP_2)
	v_fma_f64 v[22:23], -v[22:23], v[36:37], v[38:39]
	v_fma_f64 v[28:29], -v[28:29], v[40:41], v[34:35]
	s_delay_alu instid0(VALU_DEP_2) | instskip(SKIP_1) | instid1(VALU_DEP_2)
	v_div_fmas_f64 v[22:23], v[22:23], v[30:31], v[36:37]
	s_mov_b32 vcc_lo, s0
	v_div_fmas_f64 v[28:29], v[28:29], v[32:33], v[40:41]
	s_delay_alu instid0(VALU_DEP_2) | instskip(NEXT) | instid1(VALU_DEP_2)
	v_div_fixup_f64 v[3:4], v[22:23], v[10:11], v[3:4]
	v_div_fixup_f64 v[16:17], v[28:29], v[16:17], v[24:25]
	s_delay_alu instid0(VALU_DEP_2)
	v_fma_f64 v[7:8], -v[3:4], v[18:19], v[7:8]
	s_waitcnt lgkmcnt(0)
	v_fma_f64 v[18:19], -v[3:4], v[12:13], v[26:27]
	ds_load_2addr_b64 v[10:13], v42 offset0:16 offset1:32
	v_mul_f64 v[3:4], v[3:4], -v[20:21]
	s_waitcnt vmcnt(0) lgkmcnt(0)
	s_waitcnt_vscnt null, 0x0
	; wave barrier
	s_waitcnt lgkmcnt(0)
	buffer_gl0_inv
	v_mul_f64 v[10:11], v[16:17], -v[10:11]
	v_fma_f64 v[7:8], -v[16:17], v[12:13], v[7:8]
	v_fma_f64 v[12:13], -v[16:17], v[14:15], v[18:19]
	v_max_u32_e32 v14, 2, v0
	v_add_nc_u32_e32 v16, 2, v0
	ds_store_b64 v9, v[7:8] offset:256
	ds_store_b64 v9, v[3:4]
	ds_store_b64 v5, v[12:13]
	;; [unrolled: 1-line block ×3, first 2 shown]
	v_lshlrev_b32_e32 v14, 3, v14
	s_waitcnt vmcnt(0) lgkmcnt(0)
	s_waitcnt_vscnt null, 0x0
	; wave barrier
	s_waitcnt lgkmcnt(0)
	buffer_gl0_inv
	ds_load_2addr_b64 v[10:13], v14 offset0:6 offset1:14
	ds_load_b64 v[3:4], v9
	v_cmp_gt_i32_e32 vcc_lo, s3, v16
	v_add_nc_u32_e32 v15, -16, v14
	ds_load_b64 v[7:8], v9 offset:256
	ds_load_b64 v[18:19], v14 offset:240
	ds_load_b64 v[20:21], v15
	v_cndmask_b32_e32 v14, s1, v16, vcc_lo
	s_delay_alu instid0(VALU_DEP_1)
	v_lshlrev_b32_e32 v42, 3, v14
	ds_load_2addr_b64 v[14:17], v42 offset1:8
	ds_load_b64 v[24:25], v6
	ds_load_b64 v[26:27], v5
	s_waitcnt lgkmcnt(6)
	v_div_scale_f64 v[22:23], null, v[10:11], v[10:11], v[3:4]
	v_div_scale_f64 v[38:39], vcc_lo, v[3:4], v[10:11], v[3:4]
	s_waitcnt lgkmcnt(1)
	v_div_scale_f64 v[28:29], null, v[16:17], v[16:17], v[24:25]
	s_delay_alu instid0(VALU_DEP_3) | instskip(NEXT) | instid1(VALU_DEP_1)
	v_rcp_f64_e32 v[30:31], v[22:23]
	v_rcp_f64_e32 v[32:33], v[28:29]
	s_waitcnt_depctr 0xfff
	v_fma_f64 v[34:35], -v[22:23], v[30:31], 1.0
	v_fma_f64 v[36:37], -v[28:29], v[32:33], 1.0
	s_delay_alu instid0(VALU_DEP_2) | instskip(NEXT) | instid1(VALU_DEP_2)
	v_fma_f64 v[30:31], v[30:31], v[34:35], v[30:31]
	v_fma_f64 v[32:33], v[32:33], v[36:37], v[32:33]
	s_delay_alu instid0(VALU_DEP_2) | instskip(NEXT) | instid1(VALU_DEP_2)
	v_fma_f64 v[34:35], -v[22:23], v[30:31], 1.0
	v_fma_f64 v[36:37], -v[28:29], v[32:33], 1.0
	s_delay_alu instid0(VALU_DEP_2) | instskip(SKIP_1) | instid1(VALU_DEP_3)
	v_fma_f64 v[30:31], v[30:31], v[34:35], v[30:31]
	v_div_scale_f64 v[34:35], s0, v[24:25], v[16:17], v[24:25]
	v_fma_f64 v[32:33], v[32:33], v[36:37], v[32:33]
	s_delay_alu instid0(VALU_DEP_3) | instskip(NEXT) | instid1(VALU_DEP_2)
	v_mul_f64 v[36:37], v[38:39], v[30:31]
	v_mul_f64 v[40:41], v[34:35], v[32:33]
	s_delay_alu instid0(VALU_DEP_2) | instskip(NEXT) | instid1(VALU_DEP_2)
	v_fma_f64 v[22:23], -v[22:23], v[36:37], v[38:39]
	v_fma_f64 v[28:29], -v[28:29], v[40:41], v[34:35]
	s_delay_alu instid0(VALU_DEP_2) | instskip(SKIP_2) | instid1(VALU_DEP_2)
	v_div_fmas_f64 v[22:23], v[22:23], v[30:31], v[36:37]
	s_mov_b32 vcc_lo, s0
	s_mov_b32 s0, exec_lo
	v_div_fmas_f64 v[28:29], v[28:29], v[32:33], v[40:41]
	s_delay_alu instid0(VALU_DEP_2) | instskip(NEXT) | instid1(VALU_DEP_2)
	v_div_fixup_f64 v[3:4], v[22:23], v[10:11], v[3:4]
	v_div_fixup_f64 v[16:17], v[28:29], v[16:17], v[24:25]
	s_delay_alu instid0(VALU_DEP_2)
	v_fma_f64 v[7:8], -v[3:4], v[18:19], v[7:8]
	s_waitcnt lgkmcnt(0)
	v_fma_f64 v[18:19], -v[3:4], v[12:13], v[26:27]
	ds_load_2addr_b64 v[10:13], v42 offset0:16 offset1:32
	v_mul_f64 v[3:4], v[3:4], -v[20:21]
	s_waitcnt vmcnt(0) lgkmcnt(0)
	s_waitcnt_vscnt null, 0x0
	; wave barrier
	s_waitcnt lgkmcnt(0)
	buffer_gl0_inv
	v_mul_f64 v[10:11], v[16:17], -v[10:11]
	v_fma_f64 v[7:8], -v[16:17], v[12:13], v[7:8]
	v_fma_f64 v[12:13], -v[16:17], v[14:15], v[18:19]
	ds_store_b64 v9, v[7:8] offset:256
	ds_store_b64 v9, v[3:4]
	ds_store_b64 v5, v[12:13]
	;; [unrolled: 1-line block ×3, first 2 shown]
	s_waitcnt vmcnt(0) lgkmcnt(0)
	s_waitcnt_vscnt null, 0x0
	; wave barrier
	s_waitcnt lgkmcnt(0)
	buffer_gl0_inv
	v_cmpx_gt_u32_e32 4, v0
	s_cbranch_execz .LBB31_14
; %bb.9:
	v_or_b32_e32 v7, 4, v0
	v_or_b32_e32 v8, 0x100, v9
	s_mov_b32 s1, exec_lo
                                        ; implicit-def: $vgpr3_vgpr4
	s_delay_alu instid0(VALU_DEP_2)
	v_cmpx_le_i32_e64 s3, v7
	s_xor_b32 s1, exec_lo, s1
	s_cbranch_execz .LBB31_11
; %bb.10:
	ds_load_b64 v[3:4], v8
	ds_load_b64 v[5:6], v5
	s_waitcnt lgkmcnt(0)
	v_div_scale_f64 v[7:8], null, v[5:6], v[5:6], v[3:4]
	s_delay_alu instid0(VALU_DEP_1) | instskip(SKIP_2) | instid1(VALU_DEP_1)
	v_rcp_f64_e32 v[10:11], v[7:8]
	s_waitcnt_depctr 0xfff
	v_fma_f64 v[12:13], -v[7:8], v[10:11], 1.0
	v_fma_f64 v[10:11], v[10:11], v[12:13], v[10:11]
	s_delay_alu instid0(VALU_DEP_1) | instskip(NEXT) | instid1(VALU_DEP_1)
	v_fma_f64 v[12:13], -v[7:8], v[10:11], 1.0
	v_fma_f64 v[10:11], v[10:11], v[12:13], v[10:11]
	v_div_scale_f64 v[12:13], vcc_lo, v[3:4], v[5:6], v[3:4]
	s_delay_alu instid0(VALU_DEP_1) | instskip(NEXT) | instid1(VALU_DEP_1)
	v_mul_f64 v[14:15], v[12:13], v[10:11]
	v_fma_f64 v[7:8], -v[7:8], v[14:15], v[12:13]
	s_delay_alu instid0(VALU_DEP_1) | instskip(NEXT) | instid1(VALU_DEP_1)
	v_div_fmas_f64 v[7:8], v[7:8], v[10:11], v[14:15]
	v_div_fixup_f64 v[3:4], v[7:8], v[5:6], v[3:4]
                                        ; implicit-def: $vgpr5
                                        ; implicit-def: $vgpr6
                                        ; implicit-def: $vgpr8
                                        ; implicit-def: $vgpr7
.LBB31_11:
	s_and_not1_saveexec_b32 s1, s1
	s_cbranch_execz .LBB31_13
; %bb.12:
	ds_load_b64 v[14:15], v6
	ds_load_b64 v[16:17], v9 offset:32
	ds_load_2addr_b64 v[3:6], v5 offset1:4
	v_mov_b32_e32 v0, v7
	s_waitcnt lgkmcnt(1)
	v_mul_f64 v[10:11], v[14:15], v[16:17]
	s_waitcnt lgkmcnt(0)
	s_delay_alu instid0(VALU_DEP_1) | instskip(NEXT) | instid1(VALU_DEP_1)
	v_fma_f64 v[18:19], v[5:6], v[3:4], -v[10:11]
	v_div_scale_f64 v[10:11], null, v[18:19], v[18:19], 1.0
	v_div_scale_f64 v[22:23], vcc_lo, 1.0, v[18:19], 1.0
	s_delay_alu instid0(VALU_DEP_2) | instskip(SKIP_2) | instid1(VALU_DEP_1)
	v_rcp_f64_e32 v[12:13], v[10:11]
	s_waitcnt_depctr 0xfff
	v_fma_f64 v[20:21], -v[10:11], v[12:13], 1.0
	v_fma_f64 v[12:13], v[12:13], v[20:21], v[12:13]
	s_delay_alu instid0(VALU_DEP_1) | instskip(NEXT) | instid1(VALU_DEP_1)
	v_fma_f64 v[20:21], -v[10:11], v[12:13], 1.0
	v_fma_f64 v[20:21], v[12:13], v[20:21], v[12:13]
	s_delay_alu instid0(VALU_DEP_1) | instskip(NEXT) | instid1(VALU_DEP_1)
	v_mul_f64 v[24:25], v[22:23], v[20:21]
	v_fma_f64 v[22:23], -v[10:11], v[24:25], v[22:23]
	ds_load_2addr_b64 v[10:13], v8 offset1:4
	s_waitcnt lgkmcnt(0)
	v_mul_f64 v[14:15], v[14:15], v[12:13]
	v_mul_f64 v[16:17], v[16:17], v[10:11]
	v_div_fmas_f64 v[20:21], v[22:23], v[20:21], v[24:25]
	s_delay_alu instid0(VALU_DEP_3) | instskip(NEXT) | instid1(VALU_DEP_3)
	v_fma_f64 v[5:6], v[5:6], v[10:11], -v[14:15]
	v_fma_f64 v[3:4], v[3:4], v[12:13], -v[16:17]
	s_delay_alu instid0(VALU_DEP_3) | instskip(NEXT) | instid1(VALU_DEP_1)
	v_div_fixup_f64 v[18:19], v[20:21], v[18:19], 1.0
	v_mul_f64 v[5:6], v[18:19], v[5:6]
	s_delay_alu instid0(VALU_DEP_3)
	v_mul_f64 v[3:4], v[18:19], v[3:4]
	ds_store_b64 v9, v[5:6] offset:192
.LBB31_13:
	s_or_b32 exec_lo, exec_lo, s1
	v_lshlrev_b32_e32 v0, 3, v0
	ds_store_b64 v0, v[3:4] offset:192
.LBB31_14:
	s_or_b32 exec_lo, exec_lo, s0
	s_waitcnt vmcnt(0) lgkmcnt(0)
	s_waitcnt_vscnt null, 0x0
	; wave barrier
	s_waitcnt lgkmcnt(0)
	buffer_gl0_inv
	s_and_saveexec_b32 s0, s2
	s_cbranch_execz .LBB31_16
; %bb.15:
	ds_load_b64 v[3:4], v9 offset:192
	v_lshlrev_b64 v[0:1], 3, v[1:2]
	s_delay_alu instid0(VALU_DEP_1) | instskip(NEXT) | instid1(VALU_DEP_2)
	v_add_co_u32 v0, vcc_lo, s4, v0
	v_add_co_ci_u32_e32 v1, vcc_lo, s5, v1, vcc_lo
	s_waitcnt lgkmcnt(0)
	global_store_b64 v[0:1], v[3:4], off
.LBB31_16:
	s_nop 0
	s_sendmsg sendmsg(MSG_DEALLOC_VGPRS)
	s_endpgm
	.section	.rodata,"a",@progbits
	.p2align	6, 0x0
	.amdhsa_kernel _ZN9rocsparseL44gtsv_nopivot_strided_batch_pcr_shared_kernelILj8EdEEviiiPKT0_S3_S3_PS1_
		.amdhsa_group_segment_fixed_size 320
		.amdhsa_private_segment_fixed_size 0
		.amdhsa_kernarg_size 48
		.amdhsa_user_sgpr_count 15
		.amdhsa_user_sgpr_dispatch_ptr 0
		.amdhsa_user_sgpr_queue_ptr 0
		.amdhsa_user_sgpr_kernarg_segment_ptr 1
		.amdhsa_user_sgpr_dispatch_id 0
		.amdhsa_user_sgpr_private_segment_size 0
		.amdhsa_wavefront_size32 1
		.amdhsa_uses_dynamic_stack 0
		.amdhsa_enable_private_segment 0
		.amdhsa_system_sgpr_workgroup_id_x 1
		.amdhsa_system_sgpr_workgroup_id_y 0
		.amdhsa_system_sgpr_workgroup_id_z 0
		.amdhsa_system_sgpr_workgroup_info 0
		.amdhsa_system_vgpr_workitem_id 0
		.amdhsa_next_free_vgpr 43
		.amdhsa_next_free_sgpr 16
		.amdhsa_reserve_vcc 1
		.amdhsa_float_round_mode_32 0
		.amdhsa_float_round_mode_16_64 0
		.amdhsa_float_denorm_mode_32 3
		.amdhsa_float_denorm_mode_16_64 3
		.amdhsa_dx10_clamp 1
		.amdhsa_ieee_mode 1
		.amdhsa_fp16_overflow 0
		.amdhsa_workgroup_processor_mode 1
		.amdhsa_memory_ordered 1
		.amdhsa_forward_progress 0
		.amdhsa_shared_vgpr_count 0
		.amdhsa_exception_fp_ieee_invalid_op 0
		.amdhsa_exception_fp_denorm_src 0
		.amdhsa_exception_fp_ieee_div_zero 0
		.amdhsa_exception_fp_ieee_overflow 0
		.amdhsa_exception_fp_ieee_underflow 0
		.amdhsa_exception_fp_ieee_inexact 0
		.amdhsa_exception_int_div_zero 0
	.end_amdhsa_kernel
	.section	.text._ZN9rocsparseL44gtsv_nopivot_strided_batch_pcr_shared_kernelILj8EdEEviiiPKT0_S3_S3_PS1_,"axG",@progbits,_ZN9rocsparseL44gtsv_nopivot_strided_batch_pcr_shared_kernelILj8EdEEviiiPKT0_S3_S3_PS1_,comdat
.Lfunc_end31:
	.size	_ZN9rocsparseL44gtsv_nopivot_strided_batch_pcr_shared_kernelILj8EdEEviiiPKT0_S3_S3_PS1_, .Lfunc_end31-_ZN9rocsparseL44gtsv_nopivot_strided_batch_pcr_shared_kernelILj8EdEEviiiPKT0_S3_S3_PS1_
                                        ; -- End function
	.section	.AMDGPU.csdata,"",@progbits
; Kernel info:
; codeLenInByte = 1816
; NumSgprs: 18
; NumVgprs: 43
; ScratchSize: 0
; MemoryBound: 0
; FloatMode: 240
; IeeeMode: 1
; LDSByteSize: 320 bytes/workgroup (compile time only)
; SGPRBlocks: 2
; VGPRBlocks: 5
; NumSGPRsForWavesPerEU: 18
; NumVGPRsForWavesPerEU: 43
; Occupancy: 16
; WaveLimiterHint : 0
; COMPUTE_PGM_RSRC2:SCRATCH_EN: 0
; COMPUTE_PGM_RSRC2:USER_SGPR: 15
; COMPUTE_PGM_RSRC2:TRAP_HANDLER: 0
; COMPUTE_PGM_RSRC2:TGID_X_EN: 1
; COMPUTE_PGM_RSRC2:TGID_Y_EN: 0
; COMPUTE_PGM_RSRC2:TGID_Z_EN: 0
; COMPUTE_PGM_RSRC2:TIDIG_COMP_CNT: 0
	.section	.text._ZN9rocsparseL44gtsv_nopivot_strided_batch_pcr_shared_kernelILj16EdEEviiiPKT0_S3_S3_PS1_,"axG",@progbits,_ZN9rocsparseL44gtsv_nopivot_strided_batch_pcr_shared_kernelILj16EdEEviiiPKT0_S3_S3_PS1_,comdat
	.globl	_ZN9rocsparseL44gtsv_nopivot_strided_batch_pcr_shared_kernelILj16EdEEviiiPKT0_S3_S3_PS1_ ; -- Begin function _ZN9rocsparseL44gtsv_nopivot_strided_batch_pcr_shared_kernelILj16EdEEviiiPKT0_S3_S3_PS1_
	.p2align	8
	.type	_ZN9rocsparseL44gtsv_nopivot_strided_batch_pcr_shared_kernelILj16EdEEviiiPKT0_S3_S3_PS1_,@function
_ZN9rocsparseL44gtsv_nopivot_strided_batch_pcr_shared_kernelILj16EdEEviiiPKT0_S3_S3_PS1_: ; @_ZN9rocsparseL44gtsv_nopivot_strided_batch_pcr_shared_kernelILj16EdEEviiiPKT0_S3_S3_PS1_
; %bb.0:
	s_clause 0x1
	s_load_b32 s2, s[0:1], 0x8
	s_load_b32 s3, s[0:1], 0x0
	v_mov_b32_e32 v5, 0
	v_mov_b32_e32 v6, 0
	s_delay_alu instid0(VALU_DEP_1) | instskip(SKIP_3) | instid1(VALU_DEP_2)
	v_dual_mov_b32 v3, v5 :: v_dual_mov_b32 v4, v6
	s_waitcnt lgkmcnt(0)
	v_mad_u64_u32 v[1:2], null, s15, s2, v[0:1]
	v_cmp_gt_i32_e64 s2, s3, v0
	v_ashrrev_i32_e32 v2, 31, v1
	s_delay_alu instid0(VALU_DEP_2)
	s_and_saveexec_b32 s4, s2
	s_cbranch_execz .LBB32_2
; %bb.1:
	s_load_b64 s[6:7], s[0:1], 0x10
	s_delay_alu instid0(VALU_DEP_1) | instskip(SKIP_1) | instid1(VALU_DEP_1)
	v_lshlrev_b64 v[3:4], 3, v[1:2]
	s_waitcnt lgkmcnt(0)
	v_add_co_u32 v3, vcc_lo, s6, v3
	s_delay_alu instid0(VALU_DEP_2)
	v_add_co_ci_u32_e32 v4, vcc_lo, s7, v4, vcc_lo
	global_load_b64 v[3:4], v[3:4], off
.LBB32_2:
	s_or_b32 exec_lo, exec_lo, s4
	v_lshlrev_b32_e32 v9, 3, v0
	s_waitcnt vmcnt(0)
	ds_store_b64 v9, v[3:4]
	s_and_saveexec_b32 s4, s2
	s_cbranch_execz .LBB32_4
; %bb.3:
	s_load_b64 s[6:7], s[0:1], 0x18
	v_lshlrev_b64 v[3:4], 3, v[1:2]
	s_waitcnt lgkmcnt(0)
	s_delay_alu instid0(VALU_DEP_1) | instskip(NEXT) | instid1(VALU_DEP_2)
	v_add_co_u32 v3, vcc_lo, s6, v3
	v_add_co_ci_u32_e32 v4, vcc_lo, s7, v4, vcc_lo
	global_load_b64 v[5:6], v[3:4], off
.LBB32_4:
	s_or_b32 exec_lo, exec_lo, s4
	s_load_b64 s[4:5], s[0:1], 0x28
	v_mov_b32_e32 v3, 0
	v_mov_b32_e32 v4, 0
	s_waitcnt vmcnt(0)
	ds_store_b64 v9, v[5:6] offset:128
	v_dual_mov_b32 v8, v4 :: v_dual_mov_b32 v7, v3
	s_and_saveexec_b32 s6, s2
	s_cbranch_execz .LBB32_6
; %bb.5:
	s_load_b64 s[0:1], s[0:1], 0x20
	v_lshlrev_b64 v[5:6], 3, v[1:2]
	s_waitcnt lgkmcnt(0)
	s_delay_alu instid0(VALU_DEP_1) | instskip(NEXT) | instid1(VALU_DEP_2)
	v_add_co_u32 v5, vcc_lo, s0, v5
	v_add_co_ci_u32_e32 v6, vcc_lo, s1, v6, vcc_lo
	global_load_b64 v[7:8], v[5:6], off
.LBB32_6:
	s_or_b32 exec_lo, exec_lo, s6
	v_or_b32_e32 v5, 0x80, v9
	v_or_b32_e32 v6, 0x100, v9
	s_waitcnt vmcnt(0)
	ds_store_b64 v9, v[7:8] offset:256
	s_and_saveexec_b32 s0, s2
	s_cbranch_execz .LBB32_8
; %bb.7:
	v_lshlrev_b64 v[3:4], 3, v[1:2]
	s_waitcnt lgkmcnt(0)
	s_delay_alu instid0(VALU_DEP_1) | instskip(NEXT) | instid1(VALU_DEP_2)
	v_add_co_u32 v3, vcc_lo, s4, v3
	v_add_co_ci_u32_e32 v4, vcc_lo, s5, v4, vcc_lo
	global_load_b64 v[3:4], v[3:4], off
.LBB32_8:
	s_or_b32 exec_lo, exec_lo, s0
	v_max_u32_e32 v7, 1, v0
	s_waitcnt vmcnt(0)
	ds_store_b64 v9, v[3:4] offset:512
	s_waitcnt vmcnt(0) lgkmcnt(0)
	s_waitcnt_vscnt null, 0x0
	; wave barrier
	s_waitcnt lgkmcnt(0)
	buffer_gl0_inv
	v_add_nc_u32_e32 v16, 1, v0
	v_lshlrev_b32_e32 v14, 3, v7
	s_add_i32 s1, s3, -1
	ds_load_2addr_b64 v[10:13], v14 offset0:15 offset1:31
	ds_load_b64 v[3:4], v9
	v_cmp_gt_i32_e32 vcc_lo, s3, v16
	v_add_nc_u32_e32 v15, -8, v14
	ds_load_b64 v[7:8], v9 offset:512
	ds_load_b64 v[18:19], v14 offset:504
	ds_load_b64 v[20:21], v15
	v_cndmask_b32_e32 v14, s1, v16, vcc_lo
	s_delay_alu instid0(VALU_DEP_1)
	v_lshlrev_b32_e32 v42, 3, v14
	ds_load_2addr_b64 v[14:17], v42 offset1:16
	ds_load_b64 v[24:25], v6
	ds_load_b64 v[26:27], v5
	s_waitcnt lgkmcnt(6)
	v_div_scale_f64 v[22:23], null, v[10:11], v[10:11], v[3:4]
	v_div_scale_f64 v[38:39], vcc_lo, v[3:4], v[10:11], v[3:4]
	s_waitcnt lgkmcnt(1)
	v_div_scale_f64 v[28:29], null, v[16:17], v[16:17], v[24:25]
	s_delay_alu instid0(VALU_DEP_3) | instskip(NEXT) | instid1(VALU_DEP_1)
	v_rcp_f64_e32 v[30:31], v[22:23]
	v_rcp_f64_e32 v[32:33], v[28:29]
	s_waitcnt_depctr 0xfff
	v_fma_f64 v[34:35], -v[22:23], v[30:31], 1.0
	v_fma_f64 v[36:37], -v[28:29], v[32:33], 1.0
	s_delay_alu instid0(VALU_DEP_2) | instskip(NEXT) | instid1(VALU_DEP_2)
	v_fma_f64 v[30:31], v[30:31], v[34:35], v[30:31]
	v_fma_f64 v[32:33], v[32:33], v[36:37], v[32:33]
	s_delay_alu instid0(VALU_DEP_2) | instskip(NEXT) | instid1(VALU_DEP_2)
	v_fma_f64 v[34:35], -v[22:23], v[30:31], 1.0
	v_fma_f64 v[36:37], -v[28:29], v[32:33], 1.0
	s_delay_alu instid0(VALU_DEP_2) | instskip(SKIP_1) | instid1(VALU_DEP_3)
	v_fma_f64 v[30:31], v[30:31], v[34:35], v[30:31]
	v_div_scale_f64 v[34:35], s0, v[24:25], v[16:17], v[24:25]
	v_fma_f64 v[32:33], v[32:33], v[36:37], v[32:33]
	s_delay_alu instid0(VALU_DEP_3) | instskip(NEXT) | instid1(VALU_DEP_2)
	v_mul_f64 v[36:37], v[38:39], v[30:31]
	v_mul_f64 v[40:41], v[34:35], v[32:33]
	s_delay_alu instid0(VALU_DEP_2) | instskip(NEXT) | instid1(VALU_DEP_2)
	v_fma_f64 v[22:23], -v[22:23], v[36:37], v[38:39]
	v_fma_f64 v[28:29], -v[28:29], v[40:41], v[34:35]
	s_delay_alu instid0(VALU_DEP_2) | instskip(SKIP_1) | instid1(VALU_DEP_2)
	v_div_fmas_f64 v[22:23], v[22:23], v[30:31], v[36:37]
	s_mov_b32 vcc_lo, s0
	v_div_fmas_f64 v[28:29], v[28:29], v[32:33], v[40:41]
	s_delay_alu instid0(VALU_DEP_2) | instskip(NEXT) | instid1(VALU_DEP_2)
	v_div_fixup_f64 v[3:4], v[22:23], v[10:11], v[3:4]
	v_div_fixup_f64 v[16:17], v[28:29], v[16:17], v[24:25]
	s_delay_alu instid0(VALU_DEP_2)
	v_fma_f64 v[7:8], -v[3:4], v[18:19], v[7:8]
	s_waitcnt lgkmcnt(0)
	v_fma_f64 v[18:19], -v[3:4], v[12:13], v[26:27]
	ds_load_2addr_b64 v[10:13], v42 offset0:32 offset1:64
	v_mul_f64 v[3:4], v[3:4], -v[20:21]
	s_waitcnt vmcnt(0) lgkmcnt(0)
	s_waitcnt_vscnt null, 0x0
	; wave barrier
	s_waitcnt lgkmcnt(0)
	buffer_gl0_inv
	v_mul_f64 v[10:11], v[16:17], -v[10:11]
	v_fma_f64 v[7:8], -v[16:17], v[12:13], v[7:8]
	v_fma_f64 v[12:13], -v[16:17], v[14:15], v[18:19]
	v_max_u32_e32 v14, 2, v0
	v_add_nc_u32_e32 v16, 2, v0
	ds_store_b64 v9, v[7:8] offset:512
	ds_store_b64 v9, v[3:4]
	ds_store_b64 v5, v[12:13]
	;; [unrolled: 1-line block ×3, first 2 shown]
	v_lshlrev_b32_e32 v14, 3, v14
	s_waitcnt vmcnt(0) lgkmcnt(0)
	s_waitcnt_vscnt null, 0x0
	; wave barrier
	s_waitcnt lgkmcnt(0)
	buffer_gl0_inv
	ds_load_2addr_b64 v[10:13], v14 offset0:14 offset1:30
	ds_load_b64 v[3:4], v9
	v_cmp_gt_i32_e32 vcc_lo, s3, v16
	v_add_nc_u32_e32 v15, -16, v14
	ds_load_b64 v[7:8], v9 offset:512
	ds_load_b64 v[18:19], v14 offset:496
	ds_load_b64 v[20:21], v15
	v_cndmask_b32_e32 v14, s1, v16, vcc_lo
	s_delay_alu instid0(VALU_DEP_1)
	v_lshlrev_b32_e32 v42, 3, v14
	ds_load_2addr_b64 v[14:17], v42 offset1:16
	ds_load_b64 v[24:25], v6
	ds_load_b64 v[26:27], v5
	s_waitcnt lgkmcnt(6)
	v_div_scale_f64 v[22:23], null, v[10:11], v[10:11], v[3:4]
	v_div_scale_f64 v[38:39], vcc_lo, v[3:4], v[10:11], v[3:4]
	s_waitcnt lgkmcnt(1)
	v_div_scale_f64 v[28:29], null, v[16:17], v[16:17], v[24:25]
	s_delay_alu instid0(VALU_DEP_3) | instskip(NEXT) | instid1(VALU_DEP_1)
	v_rcp_f64_e32 v[30:31], v[22:23]
	v_rcp_f64_e32 v[32:33], v[28:29]
	s_waitcnt_depctr 0xfff
	v_fma_f64 v[34:35], -v[22:23], v[30:31], 1.0
	v_fma_f64 v[36:37], -v[28:29], v[32:33], 1.0
	s_delay_alu instid0(VALU_DEP_2) | instskip(NEXT) | instid1(VALU_DEP_2)
	v_fma_f64 v[30:31], v[30:31], v[34:35], v[30:31]
	v_fma_f64 v[32:33], v[32:33], v[36:37], v[32:33]
	s_delay_alu instid0(VALU_DEP_2) | instskip(NEXT) | instid1(VALU_DEP_2)
	v_fma_f64 v[34:35], -v[22:23], v[30:31], 1.0
	v_fma_f64 v[36:37], -v[28:29], v[32:33], 1.0
	s_delay_alu instid0(VALU_DEP_2) | instskip(SKIP_1) | instid1(VALU_DEP_3)
	v_fma_f64 v[30:31], v[30:31], v[34:35], v[30:31]
	v_div_scale_f64 v[34:35], s0, v[24:25], v[16:17], v[24:25]
	v_fma_f64 v[32:33], v[32:33], v[36:37], v[32:33]
	s_delay_alu instid0(VALU_DEP_3) | instskip(NEXT) | instid1(VALU_DEP_2)
	v_mul_f64 v[36:37], v[38:39], v[30:31]
	v_mul_f64 v[40:41], v[34:35], v[32:33]
	s_delay_alu instid0(VALU_DEP_2) | instskip(NEXT) | instid1(VALU_DEP_2)
	v_fma_f64 v[22:23], -v[22:23], v[36:37], v[38:39]
	v_fma_f64 v[28:29], -v[28:29], v[40:41], v[34:35]
	s_delay_alu instid0(VALU_DEP_2) | instskip(SKIP_1) | instid1(VALU_DEP_2)
	v_div_fmas_f64 v[22:23], v[22:23], v[30:31], v[36:37]
	s_mov_b32 vcc_lo, s0
	v_div_fmas_f64 v[28:29], v[28:29], v[32:33], v[40:41]
	s_delay_alu instid0(VALU_DEP_2) | instskip(NEXT) | instid1(VALU_DEP_2)
	v_div_fixup_f64 v[3:4], v[22:23], v[10:11], v[3:4]
	v_div_fixup_f64 v[16:17], v[28:29], v[16:17], v[24:25]
	s_delay_alu instid0(VALU_DEP_2)
	v_fma_f64 v[7:8], -v[3:4], v[18:19], v[7:8]
	s_waitcnt lgkmcnt(0)
	v_fma_f64 v[18:19], -v[3:4], v[12:13], v[26:27]
	ds_load_2addr_b64 v[10:13], v42 offset0:32 offset1:64
	v_mul_f64 v[3:4], v[3:4], -v[20:21]
	s_waitcnt vmcnt(0) lgkmcnt(0)
	s_waitcnt_vscnt null, 0x0
	; wave barrier
	s_waitcnt lgkmcnt(0)
	buffer_gl0_inv
	v_mul_f64 v[10:11], v[16:17], -v[10:11]
	v_fma_f64 v[7:8], -v[16:17], v[12:13], v[7:8]
	v_fma_f64 v[12:13], -v[16:17], v[14:15], v[18:19]
	v_max_u32_e32 v14, 4, v0
	v_add_nc_u32_e32 v16, 4, v0
	ds_store_b64 v9, v[7:8] offset:512
	ds_store_b64 v9, v[3:4]
	ds_store_b64 v5, v[12:13]
	;; [unrolled: 1-line block ×3, first 2 shown]
	v_lshlrev_b32_e32 v14, 3, v14
	s_waitcnt vmcnt(0) lgkmcnt(0)
	s_waitcnt_vscnt null, 0x0
	; wave barrier
	s_waitcnt lgkmcnt(0)
	buffer_gl0_inv
	ds_load_2addr_b64 v[10:13], v14 offset0:12 offset1:28
	ds_load_b64 v[3:4], v9
	v_cmp_gt_i32_e32 vcc_lo, s3, v16
	v_subrev_nc_u32_e32 v15, 32, v14
	ds_load_b64 v[7:8], v9 offset:512
	ds_load_b64 v[18:19], v14 offset:480
	ds_load_b64 v[20:21], v15
	v_cndmask_b32_e32 v14, s1, v16, vcc_lo
	s_delay_alu instid0(VALU_DEP_1)
	v_lshlrev_b32_e32 v42, 3, v14
	ds_load_2addr_b64 v[14:17], v42 offset1:16
	ds_load_b64 v[24:25], v6
	ds_load_b64 v[26:27], v5
	s_waitcnt lgkmcnt(6)
	v_div_scale_f64 v[22:23], null, v[10:11], v[10:11], v[3:4]
	v_div_scale_f64 v[38:39], vcc_lo, v[3:4], v[10:11], v[3:4]
	s_waitcnt lgkmcnt(1)
	v_div_scale_f64 v[28:29], null, v[16:17], v[16:17], v[24:25]
	s_delay_alu instid0(VALU_DEP_3) | instskip(NEXT) | instid1(VALU_DEP_1)
	v_rcp_f64_e32 v[30:31], v[22:23]
	v_rcp_f64_e32 v[32:33], v[28:29]
	s_waitcnt_depctr 0xfff
	v_fma_f64 v[34:35], -v[22:23], v[30:31], 1.0
	v_fma_f64 v[36:37], -v[28:29], v[32:33], 1.0
	s_delay_alu instid0(VALU_DEP_2) | instskip(NEXT) | instid1(VALU_DEP_2)
	v_fma_f64 v[30:31], v[30:31], v[34:35], v[30:31]
	v_fma_f64 v[32:33], v[32:33], v[36:37], v[32:33]
	s_delay_alu instid0(VALU_DEP_2) | instskip(NEXT) | instid1(VALU_DEP_2)
	v_fma_f64 v[34:35], -v[22:23], v[30:31], 1.0
	v_fma_f64 v[36:37], -v[28:29], v[32:33], 1.0
	s_delay_alu instid0(VALU_DEP_2) | instskip(SKIP_1) | instid1(VALU_DEP_3)
	v_fma_f64 v[30:31], v[30:31], v[34:35], v[30:31]
	v_div_scale_f64 v[34:35], s0, v[24:25], v[16:17], v[24:25]
	v_fma_f64 v[32:33], v[32:33], v[36:37], v[32:33]
	s_delay_alu instid0(VALU_DEP_3) | instskip(NEXT) | instid1(VALU_DEP_2)
	v_mul_f64 v[36:37], v[38:39], v[30:31]
	v_mul_f64 v[40:41], v[34:35], v[32:33]
	s_delay_alu instid0(VALU_DEP_2) | instskip(NEXT) | instid1(VALU_DEP_2)
	v_fma_f64 v[22:23], -v[22:23], v[36:37], v[38:39]
	v_fma_f64 v[28:29], -v[28:29], v[40:41], v[34:35]
	s_delay_alu instid0(VALU_DEP_2) | instskip(SKIP_2) | instid1(VALU_DEP_2)
	v_div_fmas_f64 v[22:23], v[22:23], v[30:31], v[36:37]
	s_mov_b32 vcc_lo, s0
	s_mov_b32 s0, exec_lo
	v_div_fmas_f64 v[28:29], v[28:29], v[32:33], v[40:41]
	s_delay_alu instid0(VALU_DEP_2) | instskip(NEXT) | instid1(VALU_DEP_2)
	v_div_fixup_f64 v[3:4], v[22:23], v[10:11], v[3:4]
	v_div_fixup_f64 v[16:17], v[28:29], v[16:17], v[24:25]
	s_delay_alu instid0(VALU_DEP_2)
	v_fma_f64 v[7:8], -v[3:4], v[18:19], v[7:8]
	s_waitcnt lgkmcnt(0)
	v_fma_f64 v[18:19], -v[3:4], v[12:13], v[26:27]
	ds_load_2addr_b64 v[10:13], v42 offset0:32 offset1:64
	v_mul_f64 v[3:4], v[3:4], -v[20:21]
	s_waitcnt vmcnt(0) lgkmcnt(0)
	s_waitcnt_vscnt null, 0x0
	; wave barrier
	s_waitcnt lgkmcnt(0)
	buffer_gl0_inv
	v_mul_f64 v[10:11], v[16:17], -v[10:11]
	v_fma_f64 v[7:8], -v[16:17], v[12:13], v[7:8]
	v_fma_f64 v[12:13], -v[16:17], v[14:15], v[18:19]
	ds_store_b64 v9, v[7:8] offset:512
	ds_store_b64 v9, v[3:4]
	ds_store_b64 v5, v[12:13]
	ds_store_b64 v6, v[10:11]
	s_waitcnt vmcnt(0) lgkmcnt(0)
	s_waitcnt_vscnt null, 0x0
	; wave barrier
	s_waitcnt lgkmcnt(0)
	buffer_gl0_inv
	v_cmpx_gt_u32_e32 8, v0
	s_cbranch_execz .LBB32_14
; %bb.9:
	v_or_b32_e32 v7, 8, v0
	v_or_b32_e32 v8, 0x200, v9
	s_mov_b32 s1, exec_lo
                                        ; implicit-def: $vgpr3_vgpr4
	s_delay_alu instid0(VALU_DEP_2)
	v_cmpx_le_i32_e64 s3, v7
	s_xor_b32 s1, exec_lo, s1
	s_cbranch_execz .LBB32_11
; %bb.10:
	ds_load_b64 v[3:4], v8
	ds_load_b64 v[5:6], v5
	s_waitcnt lgkmcnt(0)
	v_div_scale_f64 v[7:8], null, v[5:6], v[5:6], v[3:4]
	s_delay_alu instid0(VALU_DEP_1) | instskip(SKIP_2) | instid1(VALU_DEP_1)
	v_rcp_f64_e32 v[10:11], v[7:8]
	s_waitcnt_depctr 0xfff
	v_fma_f64 v[12:13], -v[7:8], v[10:11], 1.0
	v_fma_f64 v[10:11], v[10:11], v[12:13], v[10:11]
	s_delay_alu instid0(VALU_DEP_1) | instskip(NEXT) | instid1(VALU_DEP_1)
	v_fma_f64 v[12:13], -v[7:8], v[10:11], 1.0
	v_fma_f64 v[10:11], v[10:11], v[12:13], v[10:11]
	v_div_scale_f64 v[12:13], vcc_lo, v[3:4], v[5:6], v[3:4]
	s_delay_alu instid0(VALU_DEP_1) | instskip(NEXT) | instid1(VALU_DEP_1)
	v_mul_f64 v[14:15], v[12:13], v[10:11]
	v_fma_f64 v[7:8], -v[7:8], v[14:15], v[12:13]
	s_delay_alu instid0(VALU_DEP_1) | instskip(NEXT) | instid1(VALU_DEP_1)
	v_div_fmas_f64 v[7:8], v[7:8], v[10:11], v[14:15]
	v_div_fixup_f64 v[3:4], v[7:8], v[5:6], v[3:4]
                                        ; implicit-def: $vgpr5
                                        ; implicit-def: $vgpr6
                                        ; implicit-def: $vgpr8
                                        ; implicit-def: $vgpr7
.LBB32_11:
	s_and_not1_saveexec_b32 s1, s1
	s_cbranch_execz .LBB32_13
; %bb.12:
	ds_load_b64 v[14:15], v6
	ds_load_b64 v[16:17], v9 offset:64
	ds_load_2addr_b64 v[3:6], v5 offset1:8
	v_mov_b32_e32 v0, v7
	s_waitcnt lgkmcnt(1)
	v_mul_f64 v[10:11], v[14:15], v[16:17]
	s_waitcnt lgkmcnt(0)
	s_delay_alu instid0(VALU_DEP_1) | instskip(NEXT) | instid1(VALU_DEP_1)
	v_fma_f64 v[18:19], v[5:6], v[3:4], -v[10:11]
	v_div_scale_f64 v[10:11], null, v[18:19], v[18:19], 1.0
	v_div_scale_f64 v[22:23], vcc_lo, 1.0, v[18:19], 1.0
	s_delay_alu instid0(VALU_DEP_2) | instskip(SKIP_2) | instid1(VALU_DEP_1)
	v_rcp_f64_e32 v[12:13], v[10:11]
	s_waitcnt_depctr 0xfff
	v_fma_f64 v[20:21], -v[10:11], v[12:13], 1.0
	v_fma_f64 v[12:13], v[12:13], v[20:21], v[12:13]
	s_delay_alu instid0(VALU_DEP_1) | instskip(NEXT) | instid1(VALU_DEP_1)
	v_fma_f64 v[20:21], -v[10:11], v[12:13], 1.0
	v_fma_f64 v[20:21], v[12:13], v[20:21], v[12:13]
	s_delay_alu instid0(VALU_DEP_1) | instskip(NEXT) | instid1(VALU_DEP_1)
	v_mul_f64 v[24:25], v[22:23], v[20:21]
	v_fma_f64 v[22:23], -v[10:11], v[24:25], v[22:23]
	ds_load_2addr_b64 v[10:13], v8 offset1:8
	s_waitcnt lgkmcnt(0)
	v_mul_f64 v[14:15], v[14:15], v[12:13]
	v_mul_f64 v[16:17], v[16:17], v[10:11]
	v_div_fmas_f64 v[20:21], v[22:23], v[20:21], v[24:25]
	s_delay_alu instid0(VALU_DEP_3) | instskip(NEXT) | instid1(VALU_DEP_3)
	v_fma_f64 v[5:6], v[5:6], v[10:11], -v[14:15]
	v_fma_f64 v[3:4], v[3:4], v[12:13], -v[16:17]
	s_delay_alu instid0(VALU_DEP_3) | instskip(NEXT) | instid1(VALU_DEP_1)
	v_div_fixup_f64 v[18:19], v[20:21], v[18:19], 1.0
	v_mul_f64 v[5:6], v[18:19], v[5:6]
	s_delay_alu instid0(VALU_DEP_3)
	v_mul_f64 v[3:4], v[18:19], v[3:4]
	ds_store_b64 v9, v[5:6] offset:384
.LBB32_13:
	s_or_b32 exec_lo, exec_lo, s1
	v_lshlrev_b32_e32 v0, 3, v0
	ds_store_b64 v0, v[3:4] offset:384
.LBB32_14:
	s_or_b32 exec_lo, exec_lo, s0
	s_waitcnt vmcnt(0) lgkmcnt(0)
	s_waitcnt_vscnt null, 0x0
	; wave barrier
	s_waitcnt lgkmcnt(0)
	buffer_gl0_inv
	s_and_saveexec_b32 s0, s2
	s_cbranch_execz .LBB32_16
; %bb.15:
	ds_load_b64 v[3:4], v9 offset:384
	v_lshlrev_b64 v[0:1], 3, v[1:2]
	s_delay_alu instid0(VALU_DEP_1) | instskip(NEXT) | instid1(VALU_DEP_2)
	v_add_co_u32 v0, vcc_lo, s4, v0
	v_add_co_ci_u32_e32 v1, vcc_lo, s5, v1, vcc_lo
	s_waitcnt lgkmcnt(0)
	global_store_b64 v[0:1], v[3:4], off
.LBB32_16:
	s_nop 0
	s_sendmsg sendmsg(MSG_DEALLOC_VGPRS)
	s_endpgm
	.section	.rodata,"a",@progbits
	.p2align	6, 0x0
	.amdhsa_kernel _ZN9rocsparseL44gtsv_nopivot_strided_batch_pcr_shared_kernelILj16EdEEviiiPKT0_S3_S3_PS1_
		.amdhsa_group_segment_fixed_size 640
		.amdhsa_private_segment_fixed_size 0
		.amdhsa_kernarg_size 48
		.amdhsa_user_sgpr_count 15
		.amdhsa_user_sgpr_dispatch_ptr 0
		.amdhsa_user_sgpr_queue_ptr 0
		.amdhsa_user_sgpr_kernarg_segment_ptr 1
		.amdhsa_user_sgpr_dispatch_id 0
		.amdhsa_user_sgpr_private_segment_size 0
		.amdhsa_wavefront_size32 1
		.amdhsa_uses_dynamic_stack 0
		.amdhsa_enable_private_segment 0
		.amdhsa_system_sgpr_workgroup_id_x 1
		.amdhsa_system_sgpr_workgroup_id_y 0
		.amdhsa_system_sgpr_workgroup_id_z 0
		.amdhsa_system_sgpr_workgroup_info 0
		.amdhsa_system_vgpr_workitem_id 0
		.amdhsa_next_free_vgpr 43
		.amdhsa_next_free_sgpr 16
		.amdhsa_reserve_vcc 1
		.amdhsa_float_round_mode_32 0
		.amdhsa_float_round_mode_16_64 0
		.amdhsa_float_denorm_mode_32 3
		.amdhsa_float_denorm_mode_16_64 3
		.amdhsa_dx10_clamp 1
		.amdhsa_ieee_mode 1
		.amdhsa_fp16_overflow 0
		.amdhsa_workgroup_processor_mode 1
		.amdhsa_memory_ordered 1
		.amdhsa_forward_progress 0
		.amdhsa_shared_vgpr_count 0
		.amdhsa_exception_fp_ieee_invalid_op 0
		.amdhsa_exception_fp_denorm_src 0
		.amdhsa_exception_fp_ieee_div_zero 0
		.amdhsa_exception_fp_ieee_overflow 0
		.amdhsa_exception_fp_ieee_underflow 0
		.amdhsa_exception_fp_ieee_inexact 0
		.amdhsa_exception_int_div_zero 0
	.end_amdhsa_kernel
	.section	.text._ZN9rocsparseL44gtsv_nopivot_strided_batch_pcr_shared_kernelILj16EdEEviiiPKT0_S3_S3_PS1_,"axG",@progbits,_ZN9rocsparseL44gtsv_nopivot_strided_batch_pcr_shared_kernelILj16EdEEviiiPKT0_S3_S3_PS1_,comdat
.Lfunc_end32:
	.size	_ZN9rocsparseL44gtsv_nopivot_strided_batch_pcr_shared_kernelILj16EdEEviiiPKT0_S3_S3_PS1_, .Lfunc_end32-_ZN9rocsparseL44gtsv_nopivot_strided_batch_pcr_shared_kernelILj16EdEEviiiPKT0_S3_S3_PS1_
                                        ; -- End function
	.section	.AMDGPU.csdata,"",@progbits
; Kernel info:
; codeLenInByte = 2268
; NumSgprs: 18
; NumVgprs: 43
; ScratchSize: 0
; MemoryBound: 0
; FloatMode: 240
; IeeeMode: 1
; LDSByteSize: 640 bytes/workgroup (compile time only)
; SGPRBlocks: 2
; VGPRBlocks: 5
; NumSGPRsForWavesPerEU: 18
; NumVGPRsForWavesPerEU: 43
; Occupancy: 16
; WaveLimiterHint : 0
; COMPUTE_PGM_RSRC2:SCRATCH_EN: 0
; COMPUTE_PGM_RSRC2:USER_SGPR: 15
; COMPUTE_PGM_RSRC2:TRAP_HANDLER: 0
; COMPUTE_PGM_RSRC2:TGID_X_EN: 1
; COMPUTE_PGM_RSRC2:TGID_Y_EN: 0
; COMPUTE_PGM_RSRC2:TGID_Z_EN: 0
; COMPUTE_PGM_RSRC2:TIDIG_COMP_CNT: 0
	.section	.text._ZN9rocsparseL44gtsv_nopivot_strided_batch_pcr_shared_kernelILj32EdEEviiiPKT0_S3_S3_PS1_,"axG",@progbits,_ZN9rocsparseL44gtsv_nopivot_strided_batch_pcr_shared_kernelILj32EdEEviiiPKT0_S3_S3_PS1_,comdat
	.globl	_ZN9rocsparseL44gtsv_nopivot_strided_batch_pcr_shared_kernelILj32EdEEviiiPKT0_S3_S3_PS1_ ; -- Begin function _ZN9rocsparseL44gtsv_nopivot_strided_batch_pcr_shared_kernelILj32EdEEviiiPKT0_S3_S3_PS1_
	.p2align	8
	.type	_ZN9rocsparseL44gtsv_nopivot_strided_batch_pcr_shared_kernelILj32EdEEviiiPKT0_S3_S3_PS1_,@function
_ZN9rocsparseL44gtsv_nopivot_strided_batch_pcr_shared_kernelILj32EdEEviiiPKT0_S3_S3_PS1_: ; @_ZN9rocsparseL44gtsv_nopivot_strided_batch_pcr_shared_kernelILj32EdEEviiiPKT0_S3_S3_PS1_
; %bb.0:
	s_clause 0x1
	s_load_b32 s2, s[0:1], 0x8
	s_load_b32 s3, s[0:1], 0x0
	v_mov_b32_e32 v5, 0
	v_mov_b32_e32 v6, 0
	s_delay_alu instid0(VALU_DEP_1) | instskip(SKIP_3) | instid1(VALU_DEP_2)
	v_dual_mov_b32 v3, v5 :: v_dual_mov_b32 v4, v6
	s_waitcnt lgkmcnt(0)
	v_mad_u64_u32 v[1:2], null, s15, s2, v[0:1]
	v_cmp_gt_i32_e64 s2, s3, v0
	v_ashrrev_i32_e32 v2, 31, v1
	s_delay_alu instid0(VALU_DEP_2)
	s_and_saveexec_b32 s4, s2
	s_cbranch_execz .LBB33_2
; %bb.1:
	s_load_b64 s[6:7], s[0:1], 0x10
	s_delay_alu instid0(VALU_DEP_1) | instskip(SKIP_1) | instid1(VALU_DEP_1)
	v_lshlrev_b64 v[3:4], 3, v[1:2]
	s_waitcnt lgkmcnt(0)
	v_add_co_u32 v3, vcc_lo, s6, v3
	s_delay_alu instid0(VALU_DEP_2)
	v_add_co_ci_u32_e32 v4, vcc_lo, s7, v4, vcc_lo
	global_load_b64 v[3:4], v[3:4], off
.LBB33_2:
	s_or_b32 exec_lo, exec_lo, s4
	v_lshlrev_b32_e32 v9, 3, v0
	s_waitcnt vmcnt(0)
	ds_store_b64 v9, v[3:4]
	s_and_saveexec_b32 s4, s2
	s_cbranch_execz .LBB33_4
; %bb.3:
	s_load_b64 s[6:7], s[0:1], 0x18
	v_lshlrev_b64 v[3:4], 3, v[1:2]
	s_waitcnt lgkmcnt(0)
	s_delay_alu instid0(VALU_DEP_1) | instskip(NEXT) | instid1(VALU_DEP_2)
	v_add_co_u32 v3, vcc_lo, s6, v3
	v_add_co_ci_u32_e32 v4, vcc_lo, s7, v4, vcc_lo
	global_load_b64 v[5:6], v[3:4], off
.LBB33_4:
	s_or_b32 exec_lo, exec_lo, s4
	s_load_b64 s[4:5], s[0:1], 0x28
	v_mov_b32_e32 v3, 0
	v_mov_b32_e32 v4, 0
	s_waitcnt vmcnt(0)
	ds_store_b64 v9, v[5:6] offset:256
	v_dual_mov_b32 v8, v4 :: v_dual_mov_b32 v7, v3
	s_and_saveexec_b32 s6, s2
	s_cbranch_execz .LBB33_6
; %bb.5:
	s_load_b64 s[0:1], s[0:1], 0x20
	v_lshlrev_b64 v[5:6], 3, v[1:2]
	s_waitcnt lgkmcnt(0)
	s_delay_alu instid0(VALU_DEP_1) | instskip(NEXT) | instid1(VALU_DEP_2)
	v_add_co_u32 v5, vcc_lo, s0, v5
	v_add_co_ci_u32_e32 v6, vcc_lo, s1, v6, vcc_lo
	global_load_b64 v[7:8], v[5:6], off
.LBB33_6:
	s_or_b32 exec_lo, exec_lo, s6
	v_or_b32_e32 v5, 0x100, v9
	v_or_b32_e32 v6, 0x200, v9
	s_waitcnt vmcnt(0)
	ds_store_b64 v9, v[7:8] offset:512
	s_and_saveexec_b32 s0, s2
	s_cbranch_execz .LBB33_8
; %bb.7:
	v_lshlrev_b64 v[3:4], 3, v[1:2]
	s_waitcnt lgkmcnt(0)
	s_delay_alu instid0(VALU_DEP_1) | instskip(NEXT) | instid1(VALU_DEP_2)
	v_add_co_u32 v3, vcc_lo, s4, v3
	v_add_co_ci_u32_e32 v4, vcc_lo, s5, v4, vcc_lo
	global_load_b64 v[3:4], v[3:4], off
.LBB33_8:
	s_or_b32 exec_lo, exec_lo, s0
	v_max_u32_e32 v7, 1, v0
	s_waitcnt vmcnt(0)
	ds_store_b64 v9, v[3:4] offset:1024
	s_waitcnt vmcnt(0) lgkmcnt(0)
	s_waitcnt_vscnt null, 0x0
	; wave barrier
	s_waitcnt lgkmcnt(0)
	buffer_gl0_inv
	v_add_nc_u32_e32 v16, 1, v0
	v_lshlrev_b32_e32 v14, 3, v7
	s_add_i32 s1, s3, -1
	ds_load_2addr_b64 v[10:13], v14 offset0:31 offset1:63
	ds_load_b64 v[3:4], v9
	v_cmp_gt_i32_e32 vcc_lo, s3, v16
	v_add_nc_u32_e32 v15, -8, v14
	ds_load_b64 v[7:8], v9 offset:1024
	ds_load_b64 v[18:19], v14 offset:1016
	ds_load_b64 v[20:21], v15
	v_cndmask_b32_e32 v14, s1, v16, vcc_lo
	s_delay_alu instid0(VALU_DEP_1)
	v_lshlrev_b32_e32 v42, 3, v14
	ds_load_2addr_b64 v[14:17], v42 offset1:32
	ds_load_b64 v[24:25], v6
	ds_load_b64 v[26:27], v5
	s_waitcnt lgkmcnt(6)
	v_div_scale_f64 v[22:23], null, v[10:11], v[10:11], v[3:4]
	v_div_scale_f64 v[38:39], vcc_lo, v[3:4], v[10:11], v[3:4]
	s_waitcnt lgkmcnt(1)
	v_div_scale_f64 v[28:29], null, v[16:17], v[16:17], v[24:25]
	s_delay_alu instid0(VALU_DEP_3) | instskip(NEXT) | instid1(VALU_DEP_1)
	v_rcp_f64_e32 v[30:31], v[22:23]
	v_rcp_f64_e32 v[32:33], v[28:29]
	s_waitcnt_depctr 0xfff
	v_fma_f64 v[34:35], -v[22:23], v[30:31], 1.0
	v_fma_f64 v[36:37], -v[28:29], v[32:33], 1.0
	s_delay_alu instid0(VALU_DEP_2) | instskip(NEXT) | instid1(VALU_DEP_2)
	v_fma_f64 v[30:31], v[30:31], v[34:35], v[30:31]
	v_fma_f64 v[32:33], v[32:33], v[36:37], v[32:33]
	s_delay_alu instid0(VALU_DEP_2) | instskip(NEXT) | instid1(VALU_DEP_2)
	v_fma_f64 v[34:35], -v[22:23], v[30:31], 1.0
	v_fma_f64 v[36:37], -v[28:29], v[32:33], 1.0
	s_delay_alu instid0(VALU_DEP_2) | instskip(SKIP_1) | instid1(VALU_DEP_3)
	v_fma_f64 v[30:31], v[30:31], v[34:35], v[30:31]
	v_div_scale_f64 v[34:35], s0, v[24:25], v[16:17], v[24:25]
	v_fma_f64 v[32:33], v[32:33], v[36:37], v[32:33]
	s_delay_alu instid0(VALU_DEP_3) | instskip(NEXT) | instid1(VALU_DEP_2)
	v_mul_f64 v[36:37], v[38:39], v[30:31]
	v_mul_f64 v[40:41], v[34:35], v[32:33]
	s_delay_alu instid0(VALU_DEP_2) | instskip(NEXT) | instid1(VALU_DEP_2)
	v_fma_f64 v[22:23], -v[22:23], v[36:37], v[38:39]
	v_fma_f64 v[28:29], -v[28:29], v[40:41], v[34:35]
	s_delay_alu instid0(VALU_DEP_2) | instskip(SKIP_1) | instid1(VALU_DEP_2)
	v_div_fmas_f64 v[22:23], v[22:23], v[30:31], v[36:37]
	s_mov_b32 vcc_lo, s0
	v_div_fmas_f64 v[28:29], v[28:29], v[32:33], v[40:41]
	s_delay_alu instid0(VALU_DEP_2) | instskip(NEXT) | instid1(VALU_DEP_2)
	v_div_fixup_f64 v[3:4], v[22:23], v[10:11], v[3:4]
	v_div_fixup_f64 v[16:17], v[28:29], v[16:17], v[24:25]
	s_delay_alu instid0(VALU_DEP_2)
	v_fma_f64 v[7:8], -v[3:4], v[18:19], v[7:8]
	s_waitcnt lgkmcnt(0)
	v_fma_f64 v[18:19], -v[3:4], v[12:13], v[26:27]
	ds_load_2addr_stride64_b64 v[10:13], v42 offset0:1 offset1:2
	v_mul_f64 v[3:4], v[3:4], -v[20:21]
	s_waitcnt vmcnt(0) lgkmcnt(0)
	s_waitcnt_vscnt null, 0x0
	; wave barrier
	s_waitcnt lgkmcnt(0)
	buffer_gl0_inv
	v_mul_f64 v[10:11], v[16:17], -v[10:11]
	v_fma_f64 v[7:8], -v[16:17], v[12:13], v[7:8]
	v_fma_f64 v[12:13], -v[16:17], v[14:15], v[18:19]
	v_max_u32_e32 v14, 2, v0
	v_add_nc_u32_e32 v16, 2, v0
	ds_store_b64 v9, v[7:8] offset:1024
	ds_store_b64 v9, v[3:4]
	ds_store_b64 v5, v[12:13]
	;; [unrolled: 1-line block ×3, first 2 shown]
	v_lshlrev_b32_e32 v14, 3, v14
	s_waitcnt vmcnt(0) lgkmcnt(0)
	s_waitcnt_vscnt null, 0x0
	; wave barrier
	s_waitcnt lgkmcnt(0)
	buffer_gl0_inv
	ds_load_2addr_b64 v[10:13], v14 offset0:30 offset1:62
	ds_load_b64 v[3:4], v9
	v_cmp_gt_i32_e32 vcc_lo, s3, v16
	v_add_nc_u32_e32 v15, -16, v14
	ds_load_b64 v[7:8], v9 offset:1024
	ds_load_b64 v[18:19], v14 offset:1008
	ds_load_b64 v[20:21], v15
	v_cndmask_b32_e32 v14, s1, v16, vcc_lo
	s_delay_alu instid0(VALU_DEP_1)
	v_lshlrev_b32_e32 v42, 3, v14
	ds_load_2addr_b64 v[14:17], v42 offset1:32
	ds_load_b64 v[24:25], v6
	ds_load_b64 v[26:27], v5
	s_waitcnt lgkmcnt(6)
	v_div_scale_f64 v[22:23], null, v[10:11], v[10:11], v[3:4]
	v_div_scale_f64 v[38:39], vcc_lo, v[3:4], v[10:11], v[3:4]
	s_waitcnt lgkmcnt(1)
	v_div_scale_f64 v[28:29], null, v[16:17], v[16:17], v[24:25]
	s_delay_alu instid0(VALU_DEP_3) | instskip(NEXT) | instid1(VALU_DEP_1)
	v_rcp_f64_e32 v[30:31], v[22:23]
	v_rcp_f64_e32 v[32:33], v[28:29]
	s_waitcnt_depctr 0xfff
	v_fma_f64 v[34:35], -v[22:23], v[30:31], 1.0
	v_fma_f64 v[36:37], -v[28:29], v[32:33], 1.0
	s_delay_alu instid0(VALU_DEP_2) | instskip(NEXT) | instid1(VALU_DEP_2)
	v_fma_f64 v[30:31], v[30:31], v[34:35], v[30:31]
	v_fma_f64 v[32:33], v[32:33], v[36:37], v[32:33]
	s_delay_alu instid0(VALU_DEP_2) | instskip(NEXT) | instid1(VALU_DEP_2)
	v_fma_f64 v[34:35], -v[22:23], v[30:31], 1.0
	v_fma_f64 v[36:37], -v[28:29], v[32:33], 1.0
	s_delay_alu instid0(VALU_DEP_2) | instskip(SKIP_1) | instid1(VALU_DEP_3)
	v_fma_f64 v[30:31], v[30:31], v[34:35], v[30:31]
	v_div_scale_f64 v[34:35], s0, v[24:25], v[16:17], v[24:25]
	v_fma_f64 v[32:33], v[32:33], v[36:37], v[32:33]
	s_delay_alu instid0(VALU_DEP_3) | instskip(NEXT) | instid1(VALU_DEP_2)
	v_mul_f64 v[36:37], v[38:39], v[30:31]
	v_mul_f64 v[40:41], v[34:35], v[32:33]
	s_delay_alu instid0(VALU_DEP_2) | instskip(NEXT) | instid1(VALU_DEP_2)
	v_fma_f64 v[22:23], -v[22:23], v[36:37], v[38:39]
	v_fma_f64 v[28:29], -v[28:29], v[40:41], v[34:35]
	s_delay_alu instid0(VALU_DEP_2) | instskip(SKIP_1) | instid1(VALU_DEP_2)
	v_div_fmas_f64 v[22:23], v[22:23], v[30:31], v[36:37]
	s_mov_b32 vcc_lo, s0
	v_div_fmas_f64 v[28:29], v[28:29], v[32:33], v[40:41]
	s_delay_alu instid0(VALU_DEP_2) | instskip(NEXT) | instid1(VALU_DEP_2)
	v_div_fixup_f64 v[3:4], v[22:23], v[10:11], v[3:4]
	v_div_fixup_f64 v[16:17], v[28:29], v[16:17], v[24:25]
	s_delay_alu instid0(VALU_DEP_2)
	v_fma_f64 v[7:8], -v[3:4], v[18:19], v[7:8]
	s_waitcnt lgkmcnt(0)
	v_fma_f64 v[18:19], -v[3:4], v[12:13], v[26:27]
	ds_load_2addr_stride64_b64 v[10:13], v42 offset0:1 offset1:2
	v_mul_f64 v[3:4], v[3:4], -v[20:21]
	s_waitcnt vmcnt(0) lgkmcnt(0)
	s_waitcnt_vscnt null, 0x0
	; wave barrier
	s_waitcnt lgkmcnt(0)
	buffer_gl0_inv
	v_mul_f64 v[10:11], v[16:17], -v[10:11]
	v_fma_f64 v[7:8], -v[16:17], v[12:13], v[7:8]
	v_fma_f64 v[12:13], -v[16:17], v[14:15], v[18:19]
	v_max_u32_e32 v14, 4, v0
	v_add_nc_u32_e32 v16, 4, v0
	ds_store_b64 v9, v[7:8] offset:1024
	ds_store_b64 v9, v[3:4]
	ds_store_b64 v5, v[12:13]
	;; [unrolled: 1-line block ×3, first 2 shown]
	v_lshlrev_b32_e32 v14, 3, v14
	s_waitcnt vmcnt(0) lgkmcnt(0)
	s_waitcnt_vscnt null, 0x0
	; wave barrier
	s_waitcnt lgkmcnt(0)
	buffer_gl0_inv
	ds_load_2addr_b64 v[10:13], v14 offset0:28 offset1:60
	ds_load_b64 v[3:4], v9
	v_cmp_gt_i32_e32 vcc_lo, s3, v16
	v_subrev_nc_u32_e32 v15, 32, v14
	ds_load_b64 v[7:8], v9 offset:1024
	ds_load_b64 v[18:19], v14 offset:992
	ds_load_b64 v[20:21], v15
	v_cndmask_b32_e32 v14, s1, v16, vcc_lo
	s_delay_alu instid0(VALU_DEP_1)
	v_lshlrev_b32_e32 v42, 3, v14
	ds_load_2addr_b64 v[14:17], v42 offset1:32
	ds_load_b64 v[24:25], v6
	ds_load_b64 v[26:27], v5
	s_waitcnt lgkmcnt(6)
	v_div_scale_f64 v[22:23], null, v[10:11], v[10:11], v[3:4]
	v_div_scale_f64 v[38:39], vcc_lo, v[3:4], v[10:11], v[3:4]
	s_waitcnt lgkmcnt(1)
	v_div_scale_f64 v[28:29], null, v[16:17], v[16:17], v[24:25]
	s_delay_alu instid0(VALU_DEP_3) | instskip(NEXT) | instid1(VALU_DEP_1)
	v_rcp_f64_e32 v[30:31], v[22:23]
	v_rcp_f64_e32 v[32:33], v[28:29]
	s_waitcnt_depctr 0xfff
	v_fma_f64 v[34:35], -v[22:23], v[30:31], 1.0
	v_fma_f64 v[36:37], -v[28:29], v[32:33], 1.0
	s_delay_alu instid0(VALU_DEP_2) | instskip(NEXT) | instid1(VALU_DEP_2)
	v_fma_f64 v[30:31], v[30:31], v[34:35], v[30:31]
	v_fma_f64 v[32:33], v[32:33], v[36:37], v[32:33]
	s_delay_alu instid0(VALU_DEP_2) | instskip(NEXT) | instid1(VALU_DEP_2)
	v_fma_f64 v[34:35], -v[22:23], v[30:31], 1.0
	v_fma_f64 v[36:37], -v[28:29], v[32:33], 1.0
	s_delay_alu instid0(VALU_DEP_2) | instskip(SKIP_1) | instid1(VALU_DEP_3)
	v_fma_f64 v[30:31], v[30:31], v[34:35], v[30:31]
	v_div_scale_f64 v[34:35], s0, v[24:25], v[16:17], v[24:25]
	v_fma_f64 v[32:33], v[32:33], v[36:37], v[32:33]
	s_delay_alu instid0(VALU_DEP_3) | instskip(NEXT) | instid1(VALU_DEP_2)
	v_mul_f64 v[36:37], v[38:39], v[30:31]
	v_mul_f64 v[40:41], v[34:35], v[32:33]
	s_delay_alu instid0(VALU_DEP_2) | instskip(NEXT) | instid1(VALU_DEP_2)
	v_fma_f64 v[22:23], -v[22:23], v[36:37], v[38:39]
	v_fma_f64 v[28:29], -v[28:29], v[40:41], v[34:35]
	s_delay_alu instid0(VALU_DEP_2) | instskip(SKIP_1) | instid1(VALU_DEP_2)
	v_div_fmas_f64 v[22:23], v[22:23], v[30:31], v[36:37]
	s_mov_b32 vcc_lo, s0
	v_div_fmas_f64 v[28:29], v[28:29], v[32:33], v[40:41]
	s_delay_alu instid0(VALU_DEP_2) | instskip(NEXT) | instid1(VALU_DEP_2)
	v_div_fixup_f64 v[3:4], v[22:23], v[10:11], v[3:4]
	v_div_fixup_f64 v[16:17], v[28:29], v[16:17], v[24:25]
	s_delay_alu instid0(VALU_DEP_2)
	v_fma_f64 v[7:8], -v[3:4], v[18:19], v[7:8]
	s_waitcnt lgkmcnt(0)
	v_fma_f64 v[18:19], -v[3:4], v[12:13], v[26:27]
	ds_load_2addr_stride64_b64 v[10:13], v42 offset0:1 offset1:2
	v_mul_f64 v[3:4], v[3:4], -v[20:21]
	s_waitcnt vmcnt(0) lgkmcnt(0)
	s_waitcnt_vscnt null, 0x0
	; wave barrier
	s_waitcnt lgkmcnt(0)
	buffer_gl0_inv
	v_mul_f64 v[10:11], v[16:17], -v[10:11]
	v_fma_f64 v[7:8], -v[16:17], v[12:13], v[7:8]
	v_fma_f64 v[12:13], -v[16:17], v[14:15], v[18:19]
	v_max_u32_e32 v14, 8, v0
	v_add_nc_u32_e32 v16, 8, v0
	ds_store_b64 v9, v[7:8] offset:1024
	ds_store_b64 v9, v[3:4]
	ds_store_b64 v5, v[12:13]
	ds_store_b64 v6, v[10:11]
	v_lshlrev_b32_e32 v14, 3, v14
	s_waitcnt vmcnt(0) lgkmcnt(0)
	s_waitcnt_vscnt null, 0x0
	; wave barrier
	s_waitcnt lgkmcnt(0)
	buffer_gl0_inv
	ds_load_2addr_b64 v[10:13], v14 offset0:24 offset1:56
	ds_load_b64 v[3:4], v9
	v_cmp_gt_i32_e32 vcc_lo, s3, v16
	v_subrev_nc_u32_e32 v15, 64, v14
	ds_load_b64 v[7:8], v9 offset:1024
	ds_load_b64 v[18:19], v14 offset:960
	ds_load_b64 v[20:21], v15
	v_cndmask_b32_e32 v14, s1, v16, vcc_lo
	s_delay_alu instid0(VALU_DEP_1)
	v_lshlrev_b32_e32 v42, 3, v14
	ds_load_2addr_b64 v[14:17], v42 offset1:32
	ds_load_b64 v[24:25], v6
	ds_load_b64 v[26:27], v5
	s_waitcnt lgkmcnt(6)
	v_div_scale_f64 v[22:23], null, v[10:11], v[10:11], v[3:4]
	v_div_scale_f64 v[38:39], vcc_lo, v[3:4], v[10:11], v[3:4]
	s_waitcnt lgkmcnt(1)
	v_div_scale_f64 v[28:29], null, v[16:17], v[16:17], v[24:25]
	s_delay_alu instid0(VALU_DEP_3) | instskip(NEXT) | instid1(VALU_DEP_1)
	v_rcp_f64_e32 v[30:31], v[22:23]
	v_rcp_f64_e32 v[32:33], v[28:29]
	s_waitcnt_depctr 0xfff
	v_fma_f64 v[34:35], -v[22:23], v[30:31], 1.0
	v_fma_f64 v[36:37], -v[28:29], v[32:33], 1.0
	s_delay_alu instid0(VALU_DEP_2) | instskip(NEXT) | instid1(VALU_DEP_2)
	v_fma_f64 v[30:31], v[30:31], v[34:35], v[30:31]
	v_fma_f64 v[32:33], v[32:33], v[36:37], v[32:33]
	s_delay_alu instid0(VALU_DEP_2) | instskip(NEXT) | instid1(VALU_DEP_2)
	v_fma_f64 v[34:35], -v[22:23], v[30:31], 1.0
	v_fma_f64 v[36:37], -v[28:29], v[32:33], 1.0
	s_delay_alu instid0(VALU_DEP_2) | instskip(SKIP_1) | instid1(VALU_DEP_3)
	v_fma_f64 v[30:31], v[30:31], v[34:35], v[30:31]
	v_div_scale_f64 v[34:35], s0, v[24:25], v[16:17], v[24:25]
	v_fma_f64 v[32:33], v[32:33], v[36:37], v[32:33]
	s_delay_alu instid0(VALU_DEP_3) | instskip(NEXT) | instid1(VALU_DEP_2)
	v_mul_f64 v[36:37], v[38:39], v[30:31]
	v_mul_f64 v[40:41], v[34:35], v[32:33]
	s_delay_alu instid0(VALU_DEP_2) | instskip(NEXT) | instid1(VALU_DEP_2)
	v_fma_f64 v[22:23], -v[22:23], v[36:37], v[38:39]
	v_fma_f64 v[28:29], -v[28:29], v[40:41], v[34:35]
	s_delay_alu instid0(VALU_DEP_2) | instskip(SKIP_2) | instid1(VALU_DEP_2)
	v_div_fmas_f64 v[22:23], v[22:23], v[30:31], v[36:37]
	s_mov_b32 vcc_lo, s0
	s_mov_b32 s0, exec_lo
	v_div_fmas_f64 v[28:29], v[28:29], v[32:33], v[40:41]
	s_delay_alu instid0(VALU_DEP_2) | instskip(NEXT) | instid1(VALU_DEP_2)
	v_div_fixup_f64 v[3:4], v[22:23], v[10:11], v[3:4]
	v_div_fixup_f64 v[16:17], v[28:29], v[16:17], v[24:25]
	s_delay_alu instid0(VALU_DEP_2)
	v_fma_f64 v[7:8], -v[3:4], v[18:19], v[7:8]
	s_waitcnt lgkmcnt(0)
	v_fma_f64 v[18:19], -v[3:4], v[12:13], v[26:27]
	ds_load_2addr_stride64_b64 v[10:13], v42 offset0:1 offset1:2
	v_mul_f64 v[3:4], v[3:4], -v[20:21]
	s_waitcnt vmcnt(0) lgkmcnt(0)
	s_waitcnt_vscnt null, 0x0
	; wave barrier
	s_waitcnt lgkmcnt(0)
	buffer_gl0_inv
	v_mul_f64 v[10:11], v[16:17], -v[10:11]
	v_fma_f64 v[7:8], -v[16:17], v[12:13], v[7:8]
	v_fma_f64 v[12:13], -v[16:17], v[14:15], v[18:19]
	ds_store_b64 v9, v[7:8] offset:1024
	ds_store_b64 v9, v[3:4]
	ds_store_b64 v5, v[12:13]
	;; [unrolled: 1-line block ×3, first 2 shown]
	s_waitcnt vmcnt(0) lgkmcnt(0)
	s_waitcnt_vscnt null, 0x0
	; wave barrier
	s_waitcnt lgkmcnt(0)
	buffer_gl0_inv
	v_cmpx_gt_u32_e32 16, v0
	s_cbranch_execz .LBB33_14
; %bb.9:
	v_or_b32_e32 v7, 16, v0
	v_or_b32_e32 v8, 0x400, v9
	s_mov_b32 s1, exec_lo
                                        ; implicit-def: $vgpr3_vgpr4
	s_delay_alu instid0(VALU_DEP_2)
	v_cmpx_le_i32_e64 s3, v7
	s_xor_b32 s1, exec_lo, s1
	s_cbranch_execz .LBB33_11
; %bb.10:
	ds_load_b64 v[3:4], v8
	ds_load_b64 v[5:6], v5
	s_waitcnt lgkmcnt(0)
	v_div_scale_f64 v[7:8], null, v[5:6], v[5:6], v[3:4]
	s_delay_alu instid0(VALU_DEP_1) | instskip(SKIP_2) | instid1(VALU_DEP_1)
	v_rcp_f64_e32 v[10:11], v[7:8]
	s_waitcnt_depctr 0xfff
	v_fma_f64 v[12:13], -v[7:8], v[10:11], 1.0
	v_fma_f64 v[10:11], v[10:11], v[12:13], v[10:11]
	s_delay_alu instid0(VALU_DEP_1) | instskip(NEXT) | instid1(VALU_DEP_1)
	v_fma_f64 v[12:13], -v[7:8], v[10:11], 1.0
	v_fma_f64 v[10:11], v[10:11], v[12:13], v[10:11]
	v_div_scale_f64 v[12:13], vcc_lo, v[3:4], v[5:6], v[3:4]
	s_delay_alu instid0(VALU_DEP_1) | instskip(NEXT) | instid1(VALU_DEP_1)
	v_mul_f64 v[14:15], v[12:13], v[10:11]
	v_fma_f64 v[7:8], -v[7:8], v[14:15], v[12:13]
	s_delay_alu instid0(VALU_DEP_1) | instskip(NEXT) | instid1(VALU_DEP_1)
	v_div_fmas_f64 v[7:8], v[7:8], v[10:11], v[14:15]
	v_div_fixup_f64 v[3:4], v[7:8], v[5:6], v[3:4]
                                        ; implicit-def: $vgpr5
                                        ; implicit-def: $vgpr6
                                        ; implicit-def: $vgpr8
                                        ; implicit-def: $vgpr7
.LBB33_11:
	s_and_not1_saveexec_b32 s1, s1
	s_cbranch_execz .LBB33_13
; %bb.12:
	ds_load_b64 v[14:15], v6
	ds_load_b64 v[16:17], v9 offset:128
	ds_load_2addr_b64 v[3:6], v5 offset1:16
	v_mov_b32_e32 v0, v7
	s_waitcnt lgkmcnt(1)
	v_mul_f64 v[10:11], v[14:15], v[16:17]
	s_waitcnt lgkmcnt(0)
	s_delay_alu instid0(VALU_DEP_1) | instskip(NEXT) | instid1(VALU_DEP_1)
	v_fma_f64 v[18:19], v[5:6], v[3:4], -v[10:11]
	v_div_scale_f64 v[10:11], null, v[18:19], v[18:19], 1.0
	v_div_scale_f64 v[22:23], vcc_lo, 1.0, v[18:19], 1.0
	s_delay_alu instid0(VALU_DEP_2) | instskip(SKIP_2) | instid1(VALU_DEP_1)
	v_rcp_f64_e32 v[12:13], v[10:11]
	s_waitcnt_depctr 0xfff
	v_fma_f64 v[20:21], -v[10:11], v[12:13], 1.0
	v_fma_f64 v[12:13], v[12:13], v[20:21], v[12:13]
	s_delay_alu instid0(VALU_DEP_1) | instskip(NEXT) | instid1(VALU_DEP_1)
	v_fma_f64 v[20:21], -v[10:11], v[12:13], 1.0
	v_fma_f64 v[20:21], v[12:13], v[20:21], v[12:13]
	s_delay_alu instid0(VALU_DEP_1) | instskip(NEXT) | instid1(VALU_DEP_1)
	v_mul_f64 v[24:25], v[22:23], v[20:21]
	v_fma_f64 v[22:23], -v[10:11], v[24:25], v[22:23]
	ds_load_2addr_b64 v[10:13], v8 offset1:16
	s_waitcnt lgkmcnt(0)
	v_mul_f64 v[14:15], v[14:15], v[12:13]
	v_mul_f64 v[16:17], v[16:17], v[10:11]
	v_div_fmas_f64 v[20:21], v[22:23], v[20:21], v[24:25]
	s_delay_alu instid0(VALU_DEP_3) | instskip(NEXT) | instid1(VALU_DEP_3)
	v_fma_f64 v[5:6], v[5:6], v[10:11], -v[14:15]
	v_fma_f64 v[3:4], v[3:4], v[12:13], -v[16:17]
	s_delay_alu instid0(VALU_DEP_3) | instskip(NEXT) | instid1(VALU_DEP_1)
	v_div_fixup_f64 v[18:19], v[20:21], v[18:19], 1.0
	v_mul_f64 v[5:6], v[18:19], v[5:6]
	s_delay_alu instid0(VALU_DEP_3)
	v_mul_f64 v[3:4], v[18:19], v[3:4]
	ds_store_b64 v9, v[5:6] offset:768
.LBB33_13:
	s_or_b32 exec_lo, exec_lo, s1
	v_lshlrev_b32_e32 v0, 3, v0
	ds_store_b64 v0, v[3:4] offset:768
.LBB33_14:
	s_or_b32 exec_lo, exec_lo, s0
	s_waitcnt vmcnt(0) lgkmcnt(0)
	s_waitcnt_vscnt null, 0x0
	; wave barrier
	s_waitcnt lgkmcnt(0)
	buffer_gl0_inv
	s_and_saveexec_b32 s0, s2
	s_cbranch_execz .LBB33_16
; %bb.15:
	ds_load_b64 v[3:4], v9 offset:768
	v_lshlrev_b64 v[0:1], 3, v[1:2]
	s_delay_alu instid0(VALU_DEP_1) | instskip(NEXT) | instid1(VALU_DEP_2)
	v_add_co_u32 v0, vcc_lo, s4, v0
	v_add_co_ci_u32_e32 v1, vcc_lo, s5, v1, vcc_lo
	s_waitcnt lgkmcnt(0)
	global_store_b64 v[0:1], v[3:4], off
.LBB33_16:
	s_nop 0
	s_sendmsg sendmsg(MSG_DEALLOC_VGPRS)
	s_endpgm
	.section	.rodata,"a",@progbits
	.p2align	6, 0x0
	.amdhsa_kernel _ZN9rocsparseL44gtsv_nopivot_strided_batch_pcr_shared_kernelILj32EdEEviiiPKT0_S3_S3_PS1_
		.amdhsa_group_segment_fixed_size 1280
		.amdhsa_private_segment_fixed_size 0
		.amdhsa_kernarg_size 48
		.amdhsa_user_sgpr_count 15
		.amdhsa_user_sgpr_dispatch_ptr 0
		.amdhsa_user_sgpr_queue_ptr 0
		.amdhsa_user_sgpr_kernarg_segment_ptr 1
		.amdhsa_user_sgpr_dispatch_id 0
		.amdhsa_user_sgpr_private_segment_size 0
		.amdhsa_wavefront_size32 1
		.amdhsa_uses_dynamic_stack 0
		.amdhsa_enable_private_segment 0
		.amdhsa_system_sgpr_workgroup_id_x 1
		.amdhsa_system_sgpr_workgroup_id_y 0
		.amdhsa_system_sgpr_workgroup_id_z 0
		.amdhsa_system_sgpr_workgroup_info 0
		.amdhsa_system_vgpr_workitem_id 0
		.amdhsa_next_free_vgpr 43
		.amdhsa_next_free_sgpr 16
		.amdhsa_reserve_vcc 1
		.amdhsa_float_round_mode_32 0
		.amdhsa_float_round_mode_16_64 0
		.amdhsa_float_denorm_mode_32 3
		.amdhsa_float_denorm_mode_16_64 3
		.amdhsa_dx10_clamp 1
		.amdhsa_ieee_mode 1
		.amdhsa_fp16_overflow 0
		.amdhsa_workgroup_processor_mode 1
		.amdhsa_memory_ordered 1
		.amdhsa_forward_progress 0
		.amdhsa_shared_vgpr_count 0
		.amdhsa_exception_fp_ieee_invalid_op 0
		.amdhsa_exception_fp_denorm_src 0
		.amdhsa_exception_fp_ieee_div_zero 0
		.amdhsa_exception_fp_ieee_overflow 0
		.amdhsa_exception_fp_ieee_underflow 0
		.amdhsa_exception_fp_ieee_inexact 0
		.amdhsa_exception_int_div_zero 0
	.end_amdhsa_kernel
	.section	.text._ZN9rocsparseL44gtsv_nopivot_strided_batch_pcr_shared_kernelILj32EdEEviiiPKT0_S3_S3_PS1_,"axG",@progbits,_ZN9rocsparseL44gtsv_nopivot_strided_batch_pcr_shared_kernelILj32EdEEviiiPKT0_S3_S3_PS1_,comdat
.Lfunc_end33:
	.size	_ZN9rocsparseL44gtsv_nopivot_strided_batch_pcr_shared_kernelILj32EdEEviiiPKT0_S3_S3_PS1_, .Lfunc_end33-_ZN9rocsparseL44gtsv_nopivot_strided_batch_pcr_shared_kernelILj32EdEEviiiPKT0_S3_S3_PS1_
                                        ; -- End function
	.section	.AMDGPU.csdata,"",@progbits
; Kernel info:
; codeLenInByte = 2716
; NumSgprs: 18
; NumVgprs: 43
; ScratchSize: 0
; MemoryBound: 0
; FloatMode: 240
; IeeeMode: 1
; LDSByteSize: 1280 bytes/workgroup (compile time only)
; SGPRBlocks: 2
; VGPRBlocks: 5
; NumSGPRsForWavesPerEU: 18
; NumVGPRsForWavesPerEU: 43
; Occupancy: 16
; WaveLimiterHint : 0
; COMPUTE_PGM_RSRC2:SCRATCH_EN: 0
; COMPUTE_PGM_RSRC2:USER_SGPR: 15
; COMPUTE_PGM_RSRC2:TRAP_HANDLER: 0
; COMPUTE_PGM_RSRC2:TGID_X_EN: 1
; COMPUTE_PGM_RSRC2:TGID_Y_EN: 0
; COMPUTE_PGM_RSRC2:TGID_Z_EN: 0
; COMPUTE_PGM_RSRC2:TIDIG_COMP_CNT: 0
	.section	.text._ZN9rocsparseL44gtsv_nopivot_strided_batch_pcr_shared_kernelILj64EdEEviiiPKT0_S3_S3_PS1_,"axG",@progbits,_ZN9rocsparseL44gtsv_nopivot_strided_batch_pcr_shared_kernelILj64EdEEviiiPKT0_S3_S3_PS1_,comdat
	.globl	_ZN9rocsparseL44gtsv_nopivot_strided_batch_pcr_shared_kernelILj64EdEEviiiPKT0_S3_S3_PS1_ ; -- Begin function _ZN9rocsparseL44gtsv_nopivot_strided_batch_pcr_shared_kernelILj64EdEEviiiPKT0_S3_S3_PS1_
	.p2align	8
	.type	_ZN9rocsparseL44gtsv_nopivot_strided_batch_pcr_shared_kernelILj64EdEEviiiPKT0_S3_S3_PS1_,@function
_ZN9rocsparseL44gtsv_nopivot_strided_batch_pcr_shared_kernelILj64EdEEviiiPKT0_S3_S3_PS1_: ; @_ZN9rocsparseL44gtsv_nopivot_strided_batch_pcr_shared_kernelILj64EdEEviiiPKT0_S3_S3_PS1_
; %bb.0:
	s_clause 0x1
	s_load_b32 s2, s[0:1], 0x8
	s_load_b32 s3, s[0:1], 0x0
	v_mov_b32_e32 v5, 0
	v_mov_b32_e32 v6, 0
	s_delay_alu instid0(VALU_DEP_1) | instskip(SKIP_3) | instid1(VALU_DEP_2)
	v_dual_mov_b32 v3, v5 :: v_dual_mov_b32 v4, v6
	s_waitcnt lgkmcnt(0)
	v_mad_u64_u32 v[1:2], null, s15, s2, v[0:1]
	v_cmp_gt_i32_e64 s2, s3, v0
	v_ashrrev_i32_e32 v2, 31, v1
	s_delay_alu instid0(VALU_DEP_2)
	s_and_saveexec_b32 s4, s2
	s_cbranch_execz .LBB34_2
; %bb.1:
	s_load_b64 s[6:7], s[0:1], 0x10
	s_delay_alu instid0(VALU_DEP_1) | instskip(SKIP_1) | instid1(VALU_DEP_1)
	v_lshlrev_b64 v[3:4], 3, v[1:2]
	s_waitcnt lgkmcnt(0)
	v_add_co_u32 v3, vcc_lo, s6, v3
	s_delay_alu instid0(VALU_DEP_2)
	v_add_co_ci_u32_e32 v4, vcc_lo, s7, v4, vcc_lo
	global_load_b64 v[3:4], v[3:4], off
.LBB34_2:
	s_or_b32 exec_lo, exec_lo, s4
	v_lshlrev_b32_e32 v9, 3, v0
	s_waitcnt vmcnt(0)
	ds_store_b64 v9, v[3:4]
	s_and_saveexec_b32 s4, s2
	s_cbranch_execz .LBB34_4
; %bb.3:
	s_load_b64 s[6:7], s[0:1], 0x18
	v_lshlrev_b64 v[3:4], 3, v[1:2]
	s_waitcnt lgkmcnt(0)
	s_delay_alu instid0(VALU_DEP_1) | instskip(NEXT) | instid1(VALU_DEP_2)
	v_add_co_u32 v3, vcc_lo, s6, v3
	v_add_co_ci_u32_e32 v4, vcc_lo, s7, v4, vcc_lo
	global_load_b64 v[5:6], v[3:4], off
.LBB34_4:
	s_or_b32 exec_lo, exec_lo, s4
	s_load_b64 s[4:5], s[0:1], 0x28
	v_mov_b32_e32 v3, 0
	v_mov_b32_e32 v4, 0
	s_waitcnt vmcnt(0)
	ds_store_b64 v9, v[5:6] offset:512
	v_dual_mov_b32 v8, v4 :: v_dual_mov_b32 v7, v3
	s_and_saveexec_b32 s6, s2
	s_cbranch_execz .LBB34_6
; %bb.5:
	s_load_b64 s[0:1], s[0:1], 0x20
	v_lshlrev_b64 v[5:6], 3, v[1:2]
	s_waitcnt lgkmcnt(0)
	s_delay_alu instid0(VALU_DEP_1) | instskip(NEXT) | instid1(VALU_DEP_2)
	v_add_co_u32 v5, vcc_lo, s0, v5
	v_add_co_ci_u32_e32 v6, vcc_lo, s1, v6, vcc_lo
	global_load_b64 v[7:8], v[5:6], off
.LBB34_6:
	s_or_b32 exec_lo, exec_lo, s6
	v_or_b32_e32 v5, 0x200, v9
	v_or_b32_e32 v6, 0x400, v9
	s_waitcnt vmcnt(0)
	ds_store_b64 v9, v[7:8] offset:1024
	s_and_saveexec_b32 s0, s2
	s_cbranch_execz .LBB34_8
; %bb.7:
	v_lshlrev_b64 v[3:4], 3, v[1:2]
	s_waitcnt lgkmcnt(0)
	s_delay_alu instid0(VALU_DEP_1) | instskip(NEXT) | instid1(VALU_DEP_2)
	v_add_co_u32 v3, vcc_lo, s4, v3
	v_add_co_ci_u32_e32 v4, vcc_lo, s5, v4, vcc_lo
	global_load_b64 v[3:4], v[3:4], off
.LBB34_8:
	s_or_b32 exec_lo, exec_lo, s0
	v_max_u32_e32 v7, 1, v0
	s_waitcnt vmcnt(0)
	ds_store_b64 v9, v[3:4] offset:2048
	s_waitcnt lgkmcnt(0)
	s_barrier
	buffer_gl0_inv
	v_lshlrev_b32_e32 v14, 3, v7
	v_add_nc_u32_e32 v16, 1, v0
	s_add_i32 s1, s3, -1
	ds_load_2addr_b64 v[10:13], v14 offset0:63 offset1:127
	ds_load_b64 v[3:4], v9
	v_cmp_gt_i32_e32 vcc_lo, s3, v16
	v_add_nc_u32_e32 v15, -8, v14
	ds_load_b64 v[7:8], v9 offset:2048
	ds_load_b64 v[18:19], v14 offset:2040
	ds_load_b64 v[20:21], v15
	v_cndmask_b32_e32 v14, s1, v16, vcc_lo
	s_delay_alu instid0(VALU_DEP_1)
	v_lshlrev_b32_e32 v42, 3, v14
	ds_load_2addr_stride64_b64 v[14:17], v42 offset1:1
	ds_load_b64 v[24:25], v6
	ds_load_b64 v[26:27], v5
	s_waitcnt lgkmcnt(6)
	v_div_scale_f64 v[22:23], null, v[10:11], v[10:11], v[3:4]
	v_div_scale_f64 v[38:39], vcc_lo, v[3:4], v[10:11], v[3:4]
	s_waitcnt lgkmcnt(1)
	v_div_scale_f64 v[28:29], null, v[16:17], v[16:17], v[24:25]
	s_delay_alu instid0(VALU_DEP_3) | instskip(NEXT) | instid1(VALU_DEP_1)
	v_rcp_f64_e32 v[30:31], v[22:23]
	v_rcp_f64_e32 v[32:33], v[28:29]
	s_waitcnt_depctr 0xfff
	v_fma_f64 v[34:35], -v[22:23], v[30:31], 1.0
	v_fma_f64 v[36:37], -v[28:29], v[32:33], 1.0
	s_delay_alu instid0(VALU_DEP_2) | instskip(NEXT) | instid1(VALU_DEP_2)
	v_fma_f64 v[30:31], v[30:31], v[34:35], v[30:31]
	v_fma_f64 v[32:33], v[32:33], v[36:37], v[32:33]
	s_delay_alu instid0(VALU_DEP_2) | instskip(NEXT) | instid1(VALU_DEP_2)
	v_fma_f64 v[34:35], -v[22:23], v[30:31], 1.0
	v_fma_f64 v[36:37], -v[28:29], v[32:33], 1.0
	s_delay_alu instid0(VALU_DEP_2) | instskip(SKIP_1) | instid1(VALU_DEP_3)
	v_fma_f64 v[30:31], v[30:31], v[34:35], v[30:31]
	v_div_scale_f64 v[34:35], s0, v[24:25], v[16:17], v[24:25]
	v_fma_f64 v[32:33], v[32:33], v[36:37], v[32:33]
	s_delay_alu instid0(VALU_DEP_3) | instskip(NEXT) | instid1(VALU_DEP_2)
	v_mul_f64 v[36:37], v[38:39], v[30:31]
	v_mul_f64 v[40:41], v[34:35], v[32:33]
	s_delay_alu instid0(VALU_DEP_2) | instskip(NEXT) | instid1(VALU_DEP_2)
	v_fma_f64 v[22:23], -v[22:23], v[36:37], v[38:39]
	v_fma_f64 v[28:29], -v[28:29], v[40:41], v[34:35]
	s_delay_alu instid0(VALU_DEP_2) | instskip(SKIP_1) | instid1(VALU_DEP_2)
	v_div_fmas_f64 v[22:23], v[22:23], v[30:31], v[36:37]
	s_mov_b32 vcc_lo, s0
	v_div_fmas_f64 v[28:29], v[28:29], v[32:33], v[40:41]
	s_delay_alu instid0(VALU_DEP_2) | instskip(NEXT) | instid1(VALU_DEP_2)
	v_div_fixup_f64 v[3:4], v[22:23], v[10:11], v[3:4]
	v_div_fixup_f64 v[16:17], v[28:29], v[16:17], v[24:25]
	s_delay_alu instid0(VALU_DEP_2)
	v_fma_f64 v[7:8], -v[3:4], v[18:19], v[7:8]
	s_waitcnt lgkmcnt(0)
	v_fma_f64 v[18:19], -v[3:4], v[12:13], v[26:27]
	ds_load_2addr_stride64_b64 v[10:13], v42 offset0:2 offset1:4
	v_mul_f64 v[3:4], v[3:4], -v[20:21]
	s_waitcnt lgkmcnt(0)
	s_barrier
	buffer_gl0_inv
	v_mul_f64 v[10:11], v[16:17], -v[10:11]
	v_fma_f64 v[7:8], -v[16:17], v[12:13], v[7:8]
	v_fma_f64 v[12:13], -v[16:17], v[14:15], v[18:19]
	v_max_u32_e32 v14, 2, v0
	v_add_nc_u32_e32 v16, 2, v0
	ds_store_b64 v9, v[7:8] offset:2048
	ds_store_b64 v9, v[3:4]
	ds_store_b64 v5, v[12:13]
	;; [unrolled: 1-line block ×3, first 2 shown]
	v_lshlrev_b32_e32 v14, 3, v14
	s_waitcnt lgkmcnt(0)
	s_barrier
	buffer_gl0_inv
	ds_load_2addr_b64 v[10:13], v14 offset0:62 offset1:126
	ds_load_b64 v[3:4], v9
	v_cmp_gt_i32_e32 vcc_lo, s3, v16
	v_add_nc_u32_e32 v15, -16, v14
	ds_load_b64 v[7:8], v9 offset:2048
	ds_load_b64 v[18:19], v14 offset:2032
	ds_load_b64 v[20:21], v15
	v_cndmask_b32_e32 v14, s1, v16, vcc_lo
	s_delay_alu instid0(VALU_DEP_1)
	v_lshlrev_b32_e32 v42, 3, v14
	ds_load_2addr_stride64_b64 v[14:17], v42 offset1:1
	ds_load_b64 v[24:25], v6
	ds_load_b64 v[26:27], v5
	s_waitcnt lgkmcnt(6)
	v_div_scale_f64 v[22:23], null, v[10:11], v[10:11], v[3:4]
	v_div_scale_f64 v[38:39], vcc_lo, v[3:4], v[10:11], v[3:4]
	s_waitcnt lgkmcnt(1)
	v_div_scale_f64 v[28:29], null, v[16:17], v[16:17], v[24:25]
	s_delay_alu instid0(VALU_DEP_3) | instskip(NEXT) | instid1(VALU_DEP_1)
	v_rcp_f64_e32 v[30:31], v[22:23]
	v_rcp_f64_e32 v[32:33], v[28:29]
	s_waitcnt_depctr 0xfff
	v_fma_f64 v[34:35], -v[22:23], v[30:31], 1.0
	v_fma_f64 v[36:37], -v[28:29], v[32:33], 1.0
	s_delay_alu instid0(VALU_DEP_2) | instskip(NEXT) | instid1(VALU_DEP_2)
	v_fma_f64 v[30:31], v[30:31], v[34:35], v[30:31]
	v_fma_f64 v[32:33], v[32:33], v[36:37], v[32:33]
	s_delay_alu instid0(VALU_DEP_2) | instskip(NEXT) | instid1(VALU_DEP_2)
	v_fma_f64 v[34:35], -v[22:23], v[30:31], 1.0
	v_fma_f64 v[36:37], -v[28:29], v[32:33], 1.0
	s_delay_alu instid0(VALU_DEP_2) | instskip(SKIP_1) | instid1(VALU_DEP_3)
	v_fma_f64 v[30:31], v[30:31], v[34:35], v[30:31]
	v_div_scale_f64 v[34:35], s0, v[24:25], v[16:17], v[24:25]
	v_fma_f64 v[32:33], v[32:33], v[36:37], v[32:33]
	s_delay_alu instid0(VALU_DEP_3) | instskip(NEXT) | instid1(VALU_DEP_2)
	v_mul_f64 v[36:37], v[38:39], v[30:31]
	v_mul_f64 v[40:41], v[34:35], v[32:33]
	s_delay_alu instid0(VALU_DEP_2) | instskip(NEXT) | instid1(VALU_DEP_2)
	v_fma_f64 v[22:23], -v[22:23], v[36:37], v[38:39]
	v_fma_f64 v[28:29], -v[28:29], v[40:41], v[34:35]
	s_delay_alu instid0(VALU_DEP_2) | instskip(SKIP_1) | instid1(VALU_DEP_2)
	v_div_fmas_f64 v[22:23], v[22:23], v[30:31], v[36:37]
	s_mov_b32 vcc_lo, s0
	v_div_fmas_f64 v[28:29], v[28:29], v[32:33], v[40:41]
	s_delay_alu instid0(VALU_DEP_2) | instskip(NEXT) | instid1(VALU_DEP_2)
	v_div_fixup_f64 v[3:4], v[22:23], v[10:11], v[3:4]
	v_div_fixup_f64 v[16:17], v[28:29], v[16:17], v[24:25]
	s_delay_alu instid0(VALU_DEP_2)
	v_fma_f64 v[7:8], -v[3:4], v[18:19], v[7:8]
	s_waitcnt lgkmcnt(0)
	v_fma_f64 v[18:19], -v[3:4], v[12:13], v[26:27]
	ds_load_2addr_stride64_b64 v[10:13], v42 offset0:2 offset1:4
	v_mul_f64 v[3:4], v[3:4], -v[20:21]
	s_waitcnt lgkmcnt(0)
	s_barrier
	buffer_gl0_inv
	v_mul_f64 v[10:11], v[16:17], -v[10:11]
	v_fma_f64 v[7:8], -v[16:17], v[12:13], v[7:8]
	v_fma_f64 v[12:13], -v[16:17], v[14:15], v[18:19]
	v_max_u32_e32 v14, 4, v0
	v_add_nc_u32_e32 v16, 4, v0
	ds_store_b64 v9, v[7:8] offset:2048
	ds_store_b64 v9, v[3:4]
	ds_store_b64 v5, v[12:13]
	;; [unrolled: 1-line block ×3, first 2 shown]
	v_lshlrev_b32_e32 v14, 3, v14
	s_waitcnt lgkmcnt(0)
	s_barrier
	buffer_gl0_inv
	ds_load_2addr_b64 v[10:13], v14 offset0:60 offset1:124
	ds_load_b64 v[3:4], v9
	v_cmp_gt_i32_e32 vcc_lo, s3, v16
	v_subrev_nc_u32_e32 v15, 32, v14
	ds_load_b64 v[7:8], v9 offset:2048
	ds_load_b64 v[18:19], v14 offset:2016
	ds_load_b64 v[20:21], v15
	v_cndmask_b32_e32 v14, s1, v16, vcc_lo
	s_delay_alu instid0(VALU_DEP_1)
	v_lshlrev_b32_e32 v42, 3, v14
	ds_load_2addr_stride64_b64 v[14:17], v42 offset1:1
	ds_load_b64 v[24:25], v6
	ds_load_b64 v[26:27], v5
	s_waitcnt lgkmcnt(6)
	v_div_scale_f64 v[22:23], null, v[10:11], v[10:11], v[3:4]
	v_div_scale_f64 v[38:39], vcc_lo, v[3:4], v[10:11], v[3:4]
	s_waitcnt lgkmcnt(1)
	v_div_scale_f64 v[28:29], null, v[16:17], v[16:17], v[24:25]
	s_delay_alu instid0(VALU_DEP_3) | instskip(NEXT) | instid1(VALU_DEP_1)
	v_rcp_f64_e32 v[30:31], v[22:23]
	v_rcp_f64_e32 v[32:33], v[28:29]
	s_waitcnt_depctr 0xfff
	v_fma_f64 v[34:35], -v[22:23], v[30:31], 1.0
	v_fma_f64 v[36:37], -v[28:29], v[32:33], 1.0
	s_delay_alu instid0(VALU_DEP_2) | instskip(NEXT) | instid1(VALU_DEP_2)
	v_fma_f64 v[30:31], v[30:31], v[34:35], v[30:31]
	v_fma_f64 v[32:33], v[32:33], v[36:37], v[32:33]
	s_delay_alu instid0(VALU_DEP_2) | instskip(NEXT) | instid1(VALU_DEP_2)
	v_fma_f64 v[34:35], -v[22:23], v[30:31], 1.0
	v_fma_f64 v[36:37], -v[28:29], v[32:33], 1.0
	s_delay_alu instid0(VALU_DEP_2) | instskip(SKIP_1) | instid1(VALU_DEP_3)
	v_fma_f64 v[30:31], v[30:31], v[34:35], v[30:31]
	v_div_scale_f64 v[34:35], s0, v[24:25], v[16:17], v[24:25]
	v_fma_f64 v[32:33], v[32:33], v[36:37], v[32:33]
	s_delay_alu instid0(VALU_DEP_3) | instskip(NEXT) | instid1(VALU_DEP_2)
	v_mul_f64 v[36:37], v[38:39], v[30:31]
	v_mul_f64 v[40:41], v[34:35], v[32:33]
	s_delay_alu instid0(VALU_DEP_2) | instskip(NEXT) | instid1(VALU_DEP_2)
	v_fma_f64 v[22:23], -v[22:23], v[36:37], v[38:39]
	v_fma_f64 v[28:29], -v[28:29], v[40:41], v[34:35]
	s_delay_alu instid0(VALU_DEP_2) | instskip(SKIP_1) | instid1(VALU_DEP_2)
	v_div_fmas_f64 v[22:23], v[22:23], v[30:31], v[36:37]
	s_mov_b32 vcc_lo, s0
	v_div_fmas_f64 v[28:29], v[28:29], v[32:33], v[40:41]
	s_delay_alu instid0(VALU_DEP_2) | instskip(NEXT) | instid1(VALU_DEP_2)
	v_div_fixup_f64 v[3:4], v[22:23], v[10:11], v[3:4]
	v_div_fixup_f64 v[16:17], v[28:29], v[16:17], v[24:25]
	s_delay_alu instid0(VALU_DEP_2)
	v_fma_f64 v[7:8], -v[3:4], v[18:19], v[7:8]
	s_waitcnt lgkmcnt(0)
	v_fma_f64 v[18:19], -v[3:4], v[12:13], v[26:27]
	ds_load_2addr_stride64_b64 v[10:13], v42 offset0:2 offset1:4
	v_mul_f64 v[3:4], v[3:4], -v[20:21]
	s_waitcnt lgkmcnt(0)
	s_barrier
	buffer_gl0_inv
	v_mul_f64 v[10:11], v[16:17], -v[10:11]
	v_fma_f64 v[7:8], -v[16:17], v[12:13], v[7:8]
	v_fma_f64 v[12:13], -v[16:17], v[14:15], v[18:19]
	v_max_u32_e32 v14, 8, v0
	v_add_nc_u32_e32 v16, 8, v0
	ds_store_b64 v9, v[7:8] offset:2048
	ds_store_b64 v9, v[3:4]
	ds_store_b64 v5, v[12:13]
	;; [unrolled: 1-line block ×3, first 2 shown]
	v_lshlrev_b32_e32 v14, 3, v14
	s_waitcnt lgkmcnt(0)
	s_barrier
	buffer_gl0_inv
	ds_load_2addr_b64 v[10:13], v14 offset0:56 offset1:120
	ds_load_b64 v[3:4], v9
	v_cmp_gt_i32_e32 vcc_lo, s3, v16
	v_subrev_nc_u32_e32 v15, 64, v14
	ds_load_b64 v[7:8], v9 offset:2048
	ds_load_b64 v[18:19], v14 offset:1984
	ds_load_b64 v[20:21], v15
	v_cndmask_b32_e32 v14, s1, v16, vcc_lo
	s_delay_alu instid0(VALU_DEP_1)
	v_lshlrev_b32_e32 v42, 3, v14
	ds_load_2addr_stride64_b64 v[14:17], v42 offset1:1
	ds_load_b64 v[24:25], v6
	ds_load_b64 v[26:27], v5
	s_waitcnt lgkmcnt(6)
	v_div_scale_f64 v[22:23], null, v[10:11], v[10:11], v[3:4]
	v_div_scale_f64 v[38:39], vcc_lo, v[3:4], v[10:11], v[3:4]
	s_waitcnt lgkmcnt(1)
	v_div_scale_f64 v[28:29], null, v[16:17], v[16:17], v[24:25]
	s_delay_alu instid0(VALU_DEP_3) | instskip(NEXT) | instid1(VALU_DEP_1)
	v_rcp_f64_e32 v[30:31], v[22:23]
	v_rcp_f64_e32 v[32:33], v[28:29]
	s_waitcnt_depctr 0xfff
	v_fma_f64 v[34:35], -v[22:23], v[30:31], 1.0
	v_fma_f64 v[36:37], -v[28:29], v[32:33], 1.0
	s_delay_alu instid0(VALU_DEP_2) | instskip(NEXT) | instid1(VALU_DEP_2)
	v_fma_f64 v[30:31], v[30:31], v[34:35], v[30:31]
	v_fma_f64 v[32:33], v[32:33], v[36:37], v[32:33]
	s_delay_alu instid0(VALU_DEP_2) | instskip(NEXT) | instid1(VALU_DEP_2)
	v_fma_f64 v[34:35], -v[22:23], v[30:31], 1.0
	v_fma_f64 v[36:37], -v[28:29], v[32:33], 1.0
	s_delay_alu instid0(VALU_DEP_2) | instskip(SKIP_1) | instid1(VALU_DEP_3)
	v_fma_f64 v[30:31], v[30:31], v[34:35], v[30:31]
	v_div_scale_f64 v[34:35], s0, v[24:25], v[16:17], v[24:25]
	v_fma_f64 v[32:33], v[32:33], v[36:37], v[32:33]
	s_delay_alu instid0(VALU_DEP_3) | instskip(NEXT) | instid1(VALU_DEP_2)
	v_mul_f64 v[36:37], v[38:39], v[30:31]
	v_mul_f64 v[40:41], v[34:35], v[32:33]
	s_delay_alu instid0(VALU_DEP_2) | instskip(NEXT) | instid1(VALU_DEP_2)
	v_fma_f64 v[22:23], -v[22:23], v[36:37], v[38:39]
	v_fma_f64 v[28:29], -v[28:29], v[40:41], v[34:35]
	s_delay_alu instid0(VALU_DEP_2) | instskip(SKIP_1) | instid1(VALU_DEP_2)
	v_div_fmas_f64 v[22:23], v[22:23], v[30:31], v[36:37]
	s_mov_b32 vcc_lo, s0
	v_div_fmas_f64 v[28:29], v[28:29], v[32:33], v[40:41]
	s_delay_alu instid0(VALU_DEP_2) | instskip(NEXT) | instid1(VALU_DEP_2)
	v_div_fixup_f64 v[3:4], v[22:23], v[10:11], v[3:4]
	v_div_fixup_f64 v[16:17], v[28:29], v[16:17], v[24:25]
	s_delay_alu instid0(VALU_DEP_2)
	v_fma_f64 v[7:8], -v[3:4], v[18:19], v[7:8]
	s_waitcnt lgkmcnt(0)
	v_fma_f64 v[18:19], -v[3:4], v[12:13], v[26:27]
	ds_load_2addr_stride64_b64 v[10:13], v42 offset0:2 offset1:4
	v_mul_f64 v[3:4], v[3:4], -v[20:21]
	s_waitcnt lgkmcnt(0)
	s_barrier
	buffer_gl0_inv
	v_mul_f64 v[10:11], v[16:17], -v[10:11]
	v_fma_f64 v[7:8], -v[16:17], v[12:13], v[7:8]
	v_fma_f64 v[12:13], -v[16:17], v[14:15], v[18:19]
	v_max_u32_e32 v14, 16, v0
	v_add_nc_u32_e32 v16, 16, v0
	ds_store_b64 v9, v[7:8] offset:2048
	ds_store_b64 v9, v[3:4]
	ds_store_b64 v5, v[12:13]
	;; [unrolled: 1-line block ×3, first 2 shown]
	v_lshlrev_b32_e32 v14, 3, v14
	s_waitcnt lgkmcnt(0)
	s_barrier
	buffer_gl0_inv
	ds_load_2addr_b64 v[10:13], v14 offset0:48 offset1:112
	ds_load_b64 v[3:4], v9
	v_cmp_gt_i32_e32 vcc_lo, s3, v16
	v_add_nc_u32_e32 v15, 0xffffff80, v14
	ds_load_b64 v[7:8], v9 offset:2048
	ds_load_b64 v[18:19], v14 offset:1920
	ds_load_b64 v[20:21], v15
	v_cndmask_b32_e32 v14, s1, v16, vcc_lo
	s_delay_alu instid0(VALU_DEP_1)
	v_lshlrev_b32_e32 v42, 3, v14
	ds_load_2addr_stride64_b64 v[14:17], v42 offset1:1
	ds_load_b64 v[24:25], v6
	ds_load_b64 v[26:27], v5
	s_waitcnt lgkmcnt(6)
	v_div_scale_f64 v[22:23], null, v[10:11], v[10:11], v[3:4]
	v_div_scale_f64 v[38:39], vcc_lo, v[3:4], v[10:11], v[3:4]
	s_waitcnt lgkmcnt(1)
	v_div_scale_f64 v[28:29], null, v[16:17], v[16:17], v[24:25]
	s_delay_alu instid0(VALU_DEP_3) | instskip(NEXT) | instid1(VALU_DEP_1)
	v_rcp_f64_e32 v[30:31], v[22:23]
	v_rcp_f64_e32 v[32:33], v[28:29]
	s_waitcnt_depctr 0xfff
	v_fma_f64 v[34:35], -v[22:23], v[30:31], 1.0
	v_fma_f64 v[36:37], -v[28:29], v[32:33], 1.0
	s_delay_alu instid0(VALU_DEP_2) | instskip(NEXT) | instid1(VALU_DEP_2)
	v_fma_f64 v[30:31], v[30:31], v[34:35], v[30:31]
	v_fma_f64 v[32:33], v[32:33], v[36:37], v[32:33]
	s_delay_alu instid0(VALU_DEP_2) | instskip(NEXT) | instid1(VALU_DEP_2)
	v_fma_f64 v[34:35], -v[22:23], v[30:31], 1.0
	v_fma_f64 v[36:37], -v[28:29], v[32:33], 1.0
	s_delay_alu instid0(VALU_DEP_2) | instskip(SKIP_1) | instid1(VALU_DEP_3)
	v_fma_f64 v[30:31], v[30:31], v[34:35], v[30:31]
	v_div_scale_f64 v[34:35], s0, v[24:25], v[16:17], v[24:25]
	v_fma_f64 v[32:33], v[32:33], v[36:37], v[32:33]
	s_delay_alu instid0(VALU_DEP_3) | instskip(NEXT) | instid1(VALU_DEP_2)
	v_mul_f64 v[36:37], v[38:39], v[30:31]
	v_mul_f64 v[40:41], v[34:35], v[32:33]
	s_delay_alu instid0(VALU_DEP_2) | instskip(NEXT) | instid1(VALU_DEP_2)
	v_fma_f64 v[22:23], -v[22:23], v[36:37], v[38:39]
	v_fma_f64 v[28:29], -v[28:29], v[40:41], v[34:35]
	s_delay_alu instid0(VALU_DEP_2) | instskip(SKIP_2) | instid1(VALU_DEP_2)
	v_div_fmas_f64 v[22:23], v[22:23], v[30:31], v[36:37]
	s_mov_b32 vcc_lo, s0
	s_mov_b32 s0, exec_lo
	v_div_fmas_f64 v[28:29], v[28:29], v[32:33], v[40:41]
	s_delay_alu instid0(VALU_DEP_2) | instskip(NEXT) | instid1(VALU_DEP_2)
	v_div_fixup_f64 v[3:4], v[22:23], v[10:11], v[3:4]
	v_div_fixup_f64 v[16:17], v[28:29], v[16:17], v[24:25]
	s_delay_alu instid0(VALU_DEP_2)
	v_fma_f64 v[7:8], -v[3:4], v[18:19], v[7:8]
	s_waitcnt lgkmcnt(0)
	v_fma_f64 v[18:19], -v[3:4], v[12:13], v[26:27]
	ds_load_2addr_stride64_b64 v[10:13], v42 offset0:2 offset1:4
	v_mul_f64 v[3:4], v[3:4], -v[20:21]
	s_waitcnt lgkmcnt(0)
	s_barrier
	buffer_gl0_inv
	v_mul_f64 v[10:11], v[16:17], -v[10:11]
	v_fma_f64 v[7:8], -v[16:17], v[12:13], v[7:8]
	v_fma_f64 v[12:13], -v[16:17], v[14:15], v[18:19]
	ds_store_b64 v9, v[7:8] offset:2048
	ds_store_b64 v9, v[3:4]
	ds_store_b64 v5, v[12:13]
	;; [unrolled: 1-line block ×3, first 2 shown]
	s_waitcnt lgkmcnt(0)
	s_barrier
	buffer_gl0_inv
	v_cmpx_gt_u32_e32 32, v0
	s_cbranch_execz .LBB34_14
; %bb.9:
	v_or_b32_e32 v7, 32, v0
	v_or_b32_e32 v8, 0x800, v9
	s_mov_b32 s1, exec_lo
                                        ; implicit-def: $vgpr3_vgpr4
	s_delay_alu instid0(VALU_DEP_2)
	v_cmpx_le_i32_e64 s3, v7
	s_xor_b32 s1, exec_lo, s1
	s_cbranch_execz .LBB34_11
; %bb.10:
	ds_load_b64 v[3:4], v8
	ds_load_b64 v[5:6], v5
	s_waitcnt lgkmcnt(0)
	v_div_scale_f64 v[7:8], null, v[5:6], v[5:6], v[3:4]
	s_delay_alu instid0(VALU_DEP_1) | instskip(SKIP_2) | instid1(VALU_DEP_1)
	v_rcp_f64_e32 v[10:11], v[7:8]
	s_waitcnt_depctr 0xfff
	v_fma_f64 v[12:13], -v[7:8], v[10:11], 1.0
	v_fma_f64 v[10:11], v[10:11], v[12:13], v[10:11]
	s_delay_alu instid0(VALU_DEP_1) | instskip(NEXT) | instid1(VALU_DEP_1)
	v_fma_f64 v[12:13], -v[7:8], v[10:11], 1.0
	v_fma_f64 v[10:11], v[10:11], v[12:13], v[10:11]
	v_div_scale_f64 v[12:13], vcc_lo, v[3:4], v[5:6], v[3:4]
	s_delay_alu instid0(VALU_DEP_1) | instskip(NEXT) | instid1(VALU_DEP_1)
	v_mul_f64 v[14:15], v[12:13], v[10:11]
	v_fma_f64 v[7:8], -v[7:8], v[14:15], v[12:13]
	s_delay_alu instid0(VALU_DEP_1) | instskip(NEXT) | instid1(VALU_DEP_1)
	v_div_fmas_f64 v[7:8], v[7:8], v[10:11], v[14:15]
	v_div_fixup_f64 v[3:4], v[7:8], v[5:6], v[3:4]
                                        ; implicit-def: $vgpr5
                                        ; implicit-def: $vgpr6
                                        ; implicit-def: $vgpr8
                                        ; implicit-def: $vgpr7
.LBB34_11:
	s_and_not1_saveexec_b32 s1, s1
	s_cbranch_execz .LBB34_13
; %bb.12:
	ds_load_b64 v[14:15], v6
	ds_load_b64 v[16:17], v9 offset:256
	ds_load_2addr_b64 v[3:6], v5 offset1:32
	v_mov_b32_e32 v0, v7
	s_waitcnt lgkmcnt(1)
	v_mul_f64 v[10:11], v[14:15], v[16:17]
	s_waitcnt lgkmcnt(0)
	s_delay_alu instid0(VALU_DEP_1) | instskip(NEXT) | instid1(VALU_DEP_1)
	v_fma_f64 v[18:19], v[5:6], v[3:4], -v[10:11]
	v_div_scale_f64 v[10:11], null, v[18:19], v[18:19], 1.0
	v_div_scale_f64 v[22:23], vcc_lo, 1.0, v[18:19], 1.0
	s_delay_alu instid0(VALU_DEP_2) | instskip(SKIP_2) | instid1(VALU_DEP_1)
	v_rcp_f64_e32 v[12:13], v[10:11]
	s_waitcnt_depctr 0xfff
	v_fma_f64 v[20:21], -v[10:11], v[12:13], 1.0
	v_fma_f64 v[12:13], v[12:13], v[20:21], v[12:13]
	s_delay_alu instid0(VALU_DEP_1) | instskip(NEXT) | instid1(VALU_DEP_1)
	v_fma_f64 v[20:21], -v[10:11], v[12:13], 1.0
	v_fma_f64 v[20:21], v[12:13], v[20:21], v[12:13]
	s_delay_alu instid0(VALU_DEP_1) | instskip(NEXT) | instid1(VALU_DEP_1)
	v_mul_f64 v[24:25], v[22:23], v[20:21]
	v_fma_f64 v[22:23], -v[10:11], v[24:25], v[22:23]
	ds_load_2addr_b64 v[10:13], v8 offset1:32
	s_waitcnt lgkmcnt(0)
	v_mul_f64 v[14:15], v[14:15], v[12:13]
	v_mul_f64 v[16:17], v[16:17], v[10:11]
	v_div_fmas_f64 v[20:21], v[22:23], v[20:21], v[24:25]
	s_delay_alu instid0(VALU_DEP_3) | instskip(NEXT) | instid1(VALU_DEP_3)
	v_fma_f64 v[5:6], v[5:6], v[10:11], -v[14:15]
	v_fma_f64 v[3:4], v[3:4], v[12:13], -v[16:17]
	s_delay_alu instid0(VALU_DEP_3) | instskip(NEXT) | instid1(VALU_DEP_1)
	v_div_fixup_f64 v[18:19], v[20:21], v[18:19], 1.0
	v_mul_f64 v[5:6], v[18:19], v[5:6]
	s_delay_alu instid0(VALU_DEP_3)
	v_mul_f64 v[3:4], v[18:19], v[3:4]
	ds_store_b64 v9, v[5:6] offset:1536
.LBB34_13:
	s_or_b32 exec_lo, exec_lo, s1
	v_lshlrev_b32_e32 v0, 3, v0
	ds_store_b64 v0, v[3:4] offset:1536
.LBB34_14:
	s_or_b32 exec_lo, exec_lo, s0
	s_waitcnt lgkmcnt(0)
	s_barrier
	buffer_gl0_inv
	s_and_saveexec_b32 s0, s2
	s_cbranch_execz .LBB34_16
; %bb.15:
	ds_load_b64 v[3:4], v9 offset:1536
	v_lshlrev_b64 v[0:1], 3, v[1:2]
	s_delay_alu instid0(VALU_DEP_1) | instskip(NEXT) | instid1(VALU_DEP_2)
	v_add_co_u32 v0, vcc_lo, s4, v0
	v_add_co_ci_u32_e32 v1, vcc_lo, s5, v1, vcc_lo
	s_waitcnt lgkmcnt(0)
	global_store_b64 v[0:1], v[3:4], off
.LBB34_16:
	s_nop 0
	s_sendmsg sendmsg(MSG_DEALLOC_VGPRS)
	s_endpgm
	.section	.rodata,"a",@progbits
	.p2align	6, 0x0
	.amdhsa_kernel _ZN9rocsparseL44gtsv_nopivot_strided_batch_pcr_shared_kernelILj64EdEEviiiPKT0_S3_S3_PS1_
		.amdhsa_group_segment_fixed_size 2560
		.amdhsa_private_segment_fixed_size 0
		.amdhsa_kernarg_size 48
		.amdhsa_user_sgpr_count 15
		.amdhsa_user_sgpr_dispatch_ptr 0
		.amdhsa_user_sgpr_queue_ptr 0
		.amdhsa_user_sgpr_kernarg_segment_ptr 1
		.amdhsa_user_sgpr_dispatch_id 0
		.amdhsa_user_sgpr_private_segment_size 0
		.amdhsa_wavefront_size32 1
		.amdhsa_uses_dynamic_stack 0
		.amdhsa_enable_private_segment 0
		.amdhsa_system_sgpr_workgroup_id_x 1
		.amdhsa_system_sgpr_workgroup_id_y 0
		.amdhsa_system_sgpr_workgroup_id_z 0
		.amdhsa_system_sgpr_workgroup_info 0
		.amdhsa_system_vgpr_workitem_id 0
		.amdhsa_next_free_vgpr 43
		.amdhsa_next_free_sgpr 16
		.amdhsa_reserve_vcc 1
		.amdhsa_float_round_mode_32 0
		.amdhsa_float_round_mode_16_64 0
		.amdhsa_float_denorm_mode_32 3
		.amdhsa_float_denorm_mode_16_64 3
		.amdhsa_dx10_clamp 1
		.amdhsa_ieee_mode 1
		.amdhsa_fp16_overflow 0
		.amdhsa_workgroup_processor_mode 1
		.amdhsa_memory_ordered 1
		.amdhsa_forward_progress 0
		.amdhsa_shared_vgpr_count 0
		.amdhsa_exception_fp_ieee_invalid_op 0
		.amdhsa_exception_fp_denorm_src 0
		.amdhsa_exception_fp_ieee_div_zero 0
		.amdhsa_exception_fp_ieee_overflow 0
		.amdhsa_exception_fp_ieee_underflow 0
		.amdhsa_exception_fp_ieee_inexact 0
		.amdhsa_exception_int_div_zero 0
	.end_amdhsa_kernel
	.section	.text._ZN9rocsparseL44gtsv_nopivot_strided_batch_pcr_shared_kernelILj64EdEEviiiPKT0_S3_S3_PS1_,"axG",@progbits,_ZN9rocsparseL44gtsv_nopivot_strided_batch_pcr_shared_kernelILj64EdEEviiiPKT0_S3_S3_PS1_,comdat
.Lfunc_end34:
	.size	_ZN9rocsparseL44gtsv_nopivot_strided_batch_pcr_shared_kernelILj64EdEEviiiPKT0_S3_S3_PS1_, .Lfunc_end34-_ZN9rocsparseL44gtsv_nopivot_strided_batch_pcr_shared_kernelILj64EdEEviiiPKT0_S3_S3_PS1_
                                        ; -- End function
	.section	.AMDGPU.csdata,"",@progbits
; Kernel info:
; codeLenInByte = 3120
; NumSgprs: 18
; NumVgprs: 43
; ScratchSize: 0
; MemoryBound: 0
; FloatMode: 240
; IeeeMode: 1
; LDSByteSize: 2560 bytes/workgroup (compile time only)
; SGPRBlocks: 2
; VGPRBlocks: 5
; NumSGPRsForWavesPerEU: 18
; NumVGPRsForWavesPerEU: 43
; Occupancy: 16
; WaveLimiterHint : 0
; COMPUTE_PGM_RSRC2:SCRATCH_EN: 0
; COMPUTE_PGM_RSRC2:USER_SGPR: 15
; COMPUTE_PGM_RSRC2:TRAP_HANDLER: 0
; COMPUTE_PGM_RSRC2:TGID_X_EN: 1
; COMPUTE_PGM_RSRC2:TGID_Y_EN: 0
; COMPUTE_PGM_RSRC2:TGID_Z_EN: 0
; COMPUTE_PGM_RSRC2:TIDIG_COMP_CNT: 0
	.section	.text._ZN9rocsparseL44gtsv_nopivot_strided_batch_pcr_shared_kernelILj128EdEEviiiPKT0_S3_S3_PS1_,"axG",@progbits,_ZN9rocsparseL44gtsv_nopivot_strided_batch_pcr_shared_kernelILj128EdEEviiiPKT0_S3_S3_PS1_,comdat
	.globl	_ZN9rocsparseL44gtsv_nopivot_strided_batch_pcr_shared_kernelILj128EdEEviiiPKT0_S3_S3_PS1_ ; -- Begin function _ZN9rocsparseL44gtsv_nopivot_strided_batch_pcr_shared_kernelILj128EdEEviiiPKT0_S3_S3_PS1_
	.p2align	8
	.type	_ZN9rocsparseL44gtsv_nopivot_strided_batch_pcr_shared_kernelILj128EdEEviiiPKT0_S3_S3_PS1_,@function
_ZN9rocsparseL44gtsv_nopivot_strided_batch_pcr_shared_kernelILj128EdEEviiiPKT0_S3_S3_PS1_: ; @_ZN9rocsparseL44gtsv_nopivot_strided_batch_pcr_shared_kernelILj128EdEEviiiPKT0_S3_S3_PS1_
; %bb.0:
	s_clause 0x1
	s_load_b32 s2, s[0:1], 0x8
	s_load_b32 s3, s[0:1], 0x0
	v_mov_b32_e32 v5, 0
	v_mov_b32_e32 v6, 0
	s_delay_alu instid0(VALU_DEP_1) | instskip(SKIP_3) | instid1(VALU_DEP_2)
	v_dual_mov_b32 v3, v5 :: v_dual_mov_b32 v4, v6
	s_waitcnt lgkmcnt(0)
	v_mad_u64_u32 v[1:2], null, s15, s2, v[0:1]
	v_cmp_gt_i32_e64 s2, s3, v0
	v_ashrrev_i32_e32 v2, 31, v1
	s_delay_alu instid0(VALU_DEP_2)
	s_and_saveexec_b32 s4, s2
	s_cbranch_execz .LBB35_2
; %bb.1:
	s_load_b64 s[6:7], s[0:1], 0x10
	s_delay_alu instid0(VALU_DEP_1) | instskip(SKIP_1) | instid1(VALU_DEP_1)
	v_lshlrev_b64 v[3:4], 3, v[1:2]
	s_waitcnt lgkmcnt(0)
	v_add_co_u32 v3, vcc_lo, s6, v3
	s_delay_alu instid0(VALU_DEP_2)
	v_add_co_ci_u32_e32 v4, vcc_lo, s7, v4, vcc_lo
	global_load_b64 v[3:4], v[3:4], off
.LBB35_2:
	s_or_b32 exec_lo, exec_lo, s4
	v_lshlrev_b32_e32 v9, 3, v0
	s_waitcnt vmcnt(0)
	ds_store_b64 v9, v[3:4]
	s_and_saveexec_b32 s4, s2
	s_cbranch_execz .LBB35_4
; %bb.3:
	s_load_b64 s[6:7], s[0:1], 0x18
	v_lshlrev_b64 v[3:4], 3, v[1:2]
	s_waitcnt lgkmcnt(0)
	s_delay_alu instid0(VALU_DEP_1) | instskip(NEXT) | instid1(VALU_DEP_2)
	v_add_co_u32 v3, vcc_lo, s6, v3
	v_add_co_ci_u32_e32 v4, vcc_lo, s7, v4, vcc_lo
	global_load_b64 v[5:6], v[3:4], off
.LBB35_4:
	s_or_b32 exec_lo, exec_lo, s4
	s_load_b64 s[4:5], s[0:1], 0x28
	v_mov_b32_e32 v3, 0
	v_mov_b32_e32 v4, 0
	s_waitcnt vmcnt(0)
	ds_store_b64 v9, v[5:6] offset:1024
	v_dual_mov_b32 v8, v4 :: v_dual_mov_b32 v7, v3
	s_and_saveexec_b32 s6, s2
	s_cbranch_execz .LBB35_6
; %bb.5:
	s_load_b64 s[0:1], s[0:1], 0x20
	v_lshlrev_b64 v[5:6], 3, v[1:2]
	s_waitcnt lgkmcnt(0)
	s_delay_alu instid0(VALU_DEP_1) | instskip(NEXT) | instid1(VALU_DEP_2)
	v_add_co_u32 v5, vcc_lo, s0, v5
	v_add_co_ci_u32_e32 v6, vcc_lo, s1, v6, vcc_lo
	global_load_b64 v[7:8], v[5:6], off
.LBB35_6:
	s_or_b32 exec_lo, exec_lo, s6
	v_or_b32_e32 v5, 0x400, v9
	v_or_b32_e32 v6, 0x800, v9
	s_waitcnt vmcnt(0)
	ds_store_b64 v9, v[7:8] offset:2048
	s_and_saveexec_b32 s0, s2
	s_cbranch_execz .LBB35_8
; %bb.7:
	v_lshlrev_b64 v[3:4], 3, v[1:2]
	s_waitcnt lgkmcnt(0)
	s_delay_alu instid0(VALU_DEP_1) | instskip(NEXT) | instid1(VALU_DEP_2)
	v_add_co_u32 v3, vcc_lo, s4, v3
	v_add_co_ci_u32_e32 v4, vcc_lo, s5, v4, vcc_lo
	global_load_b64 v[3:4], v[3:4], off
.LBB35_8:
	s_or_b32 exec_lo, exec_lo, s0
	v_max_u32_e32 v7, 1, v0
	s_waitcnt vmcnt(0)
	ds_store_b64 v9, v[3:4] offset:4096
	s_waitcnt lgkmcnt(0)
	s_barrier
	buffer_gl0_inv
	v_lshlrev_b32_e32 v14, 3, v7
	v_add_nc_u32_e32 v16, 1, v0
	s_add_i32 s1, s3, -1
	ds_load_2addr_b64 v[10:13], v14 offset0:127 offset1:255
	ds_load_b64 v[3:4], v9
	v_cmp_gt_i32_e32 vcc_lo, s3, v16
	v_add_nc_u32_e32 v15, -8, v14
	ds_load_b64 v[7:8], v9 offset:4096
	ds_load_b64 v[18:19], v14 offset:4088
	ds_load_b64 v[20:21], v15
	v_cndmask_b32_e32 v14, s1, v16, vcc_lo
	s_delay_alu instid0(VALU_DEP_1)
	v_lshlrev_b32_e32 v42, 3, v14
	ds_load_2addr_stride64_b64 v[14:17], v42 offset1:2
	ds_load_b64 v[24:25], v6
	ds_load_b64 v[26:27], v5
	s_waitcnt lgkmcnt(6)
	v_div_scale_f64 v[22:23], null, v[10:11], v[10:11], v[3:4]
	v_div_scale_f64 v[38:39], vcc_lo, v[3:4], v[10:11], v[3:4]
	s_waitcnt lgkmcnt(1)
	v_div_scale_f64 v[28:29], null, v[16:17], v[16:17], v[24:25]
	s_delay_alu instid0(VALU_DEP_3) | instskip(NEXT) | instid1(VALU_DEP_1)
	v_rcp_f64_e32 v[30:31], v[22:23]
	v_rcp_f64_e32 v[32:33], v[28:29]
	s_waitcnt_depctr 0xfff
	v_fma_f64 v[34:35], -v[22:23], v[30:31], 1.0
	v_fma_f64 v[36:37], -v[28:29], v[32:33], 1.0
	s_delay_alu instid0(VALU_DEP_2) | instskip(NEXT) | instid1(VALU_DEP_2)
	v_fma_f64 v[30:31], v[30:31], v[34:35], v[30:31]
	v_fma_f64 v[32:33], v[32:33], v[36:37], v[32:33]
	s_delay_alu instid0(VALU_DEP_2) | instskip(NEXT) | instid1(VALU_DEP_2)
	v_fma_f64 v[34:35], -v[22:23], v[30:31], 1.0
	v_fma_f64 v[36:37], -v[28:29], v[32:33], 1.0
	s_delay_alu instid0(VALU_DEP_2) | instskip(SKIP_1) | instid1(VALU_DEP_3)
	v_fma_f64 v[30:31], v[30:31], v[34:35], v[30:31]
	v_div_scale_f64 v[34:35], s0, v[24:25], v[16:17], v[24:25]
	v_fma_f64 v[32:33], v[32:33], v[36:37], v[32:33]
	s_delay_alu instid0(VALU_DEP_3) | instskip(NEXT) | instid1(VALU_DEP_2)
	v_mul_f64 v[36:37], v[38:39], v[30:31]
	v_mul_f64 v[40:41], v[34:35], v[32:33]
	s_delay_alu instid0(VALU_DEP_2) | instskip(NEXT) | instid1(VALU_DEP_2)
	v_fma_f64 v[22:23], -v[22:23], v[36:37], v[38:39]
	v_fma_f64 v[28:29], -v[28:29], v[40:41], v[34:35]
	s_delay_alu instid0(VALU_DEP_2) | instskip(SKIP_1) | instid1(VALU_DEP_2)
	v_div_fmas_f64 v[22:23], v[22:23], v[30:31], v[36:37]
	s_mov_b32 vcc_lo, s0
	v_div_fmas_f64 v[28:29], v[28:29], v[32:33], v[40:41]
	s_delay_alu instid0(VALU_DEP_2) | instskip(NEXT) | instid1(VALU_DEP_2)
	v_div_fixup_f64 v[3:4], v[22:23], v[10:11], v[3:4]
	v_div_fixup_f64 v[16:17], v[28:29], v[16:17], v[24:25]
	s_delay_alu instid0(VALU_DEP_2)
	v_fma_f64 v[7:8], -v[3:4], v[18:19], v[7:8]
	s_waitcnt lgkmcnt(0)
	v_fma_f64 v[18:19], -v[3:4], v[12:13], v[26:27]
	ds_load_2addr_stride64_b64 v[10:13], v42 offset0:4 offset1:8
	v_mul_f64 v[3:4], v[3:4], -v[20:21]
	s_waitcnt lgkmcnt(0)
	s_barrier
	buffer_gl0_inv
	v_mul_f64 v[10:11], v[16:17], -v[10:11]
	v_fma_f64 v[7:8], -v[16:17], v[12:13], v[7:8]
	v_fma_f64 v[12:13], -v[16:17], v[14:15], v[18:19]
	v_max_u32_e32 v14, 2, v0
	v_add_nc_u32_e32 v16, 2, v0
	ds_store_b64 v9, v[7:8] offset:4096
	ds_store_b64 v9, v[3:4]
	ds_store_b64 v5, v[12:13]
	;; [unrolled: 1-line block ×3, first 2 shown]
	v_lshlrev_b32_e32 v14, 3, v14
	s_waitcnt lgkmcnt(0)
	s_barrier
	buffer_gl0_inv
	ds_load_2addr_b64 v[10:13], v14 offset0:126 offset1:254
	ds_load_b64 v[3:4], v9
	v_cmp_gt_i32_e32 vcc_lo, s3, v16
	v_add_nc_u32_e32 v15, -16, v14
	ds_load_b64 v[7:8], v9 offset:4096
	ds_load_b64 v[18:19], v14 offset:4080
	ds_load_b64 v[20:21], v15
	v_cndmask_b32_e32 v14, s1, v16, vcc_lo
	s_delay_alu instid0(VALU_DEP_1)
	v_lshlrev_b32_e32 v42, 3, v14
	ds_load_2addr_stride64_b64 v[14:17], v42 offset1:2
	ds_load_b64 v[24:25], v6
	ds_load_b64 v[26:27], v5
	s_waitcnt lgkmcnt(6)
	v_div_scale_f64 v[22:23], null, v[10:11], v[10:11], v[3:4]
	v_div_scale_f64 v[38:39], vcc_lo, v[3:4], v[10:11], v[3:4]
	s_waitcnt lgkmcnt(1)
	v_div_scale_f64 v[28:29], null, v[16:17], v[16:17], v[24:25]
	s_delay_alu instid0(VALU_DEP_3) | instskip(NEXT) | instid1(VALU_DEP_1)
	v_rcp_f64_e32 v[30:31], v[22:23]
	v_rcp_f64_e32 v[32:33], v[28:29]
	s_waitcnt_depctr 0xfff
	v_fma_f64 v[34:35], -v[22:23], v[30:31], 1.0
	v_fma_f64 v[36:37], -v[28:29], v[32:33], 1.0
	s_delay_alu instid0(VALU_DEP_2) | instskip(NEXT) | instid1(VALU_DEP_2)
	v_fma_f64 v[30:31], v[30:31], v[34:35], v[30:31]
	v_fma_f64 v[32:33], v[32:33], v[36:37], v[32:33]
	s_delay_alu instid0(VALU_DEP_2) | instskip(NEXT) | instid1(VALU_DEP_2)
	v_fma_f64 v[34:35], -v[22:23], v[30:31], 1.0
	v_fma_f64 v[36:37], -v[28:29], v[32:33], 1.0
	s_delay_alu instid0(VALU_DEP_2) | instskip(SKIP_1) | instid1(VALU_DEP_3)
	v_fma_f64 v[30:31], v[30:31], v[34:35], v[30:31]
	v_div_scale_f64 v[34:35], s0, v[24:25], v[16:17], v[24:25]
	v_fma_f64 v[32:33], v[32:33], v[36:37], v[32:33]
	s_delay_alu instid0(VALU_DEP_3) | instskip(NEXT) | instid1(VALU_DEP_2)
	v_mul_f64 v[36:37], v[38:39], v[30:31]
	v_mul_f64 v[40:41], v[34:35], v[32:33]
	s_delay_alu instid0(VALU_DEP_2) | instskip(NEXT) | instid1(VALU_DEP_2)
	v_fma_f64 v[22:23], -v[22:23], v[36:37], v[38:39]
	v_fma_f64 v[28:29], -v[28:29], v[40:41], v[34:35]
	s_delay_alu instid0(VALU_DEP_2) | instskip(SKIP_1) | instid1(VALU_DEP_2)
	v_div_fmas_f64 v[22:23], v[22:23], v[30:31], v[36:37]
	s_mov_b32 vcc_lo, s0
	v_div_fmas_f64 v[28:29], v[28:29], v[32:33], v[40:41]
	s_delay_alu instid0(VALU_DEP_2) | instskip(NEXT) | instid1(VALU_DEP_2)
	v_div_fixup_f64 v[3:4], v[22:23], v[10:11], v[3:4]
	v_div_fixup_f64 v[16:17], v[28:29], v[16:17], v[24:25]
	s_delay_alu instid0(VALU_DEP_2)
	v_fma_f64 v[7:8], -v[3:4], v[18:19], v[7:8]
	s_waitcnt lgkmcnt(0)
	v_fma_f64 v[18:19], -v[3:4], v[12:13], v[26:27]
	ds_load_2addr_stride64_b64 v[10:13], v42 offset0:4 offset1:8
	v_mul_f64 v[3:4], v[3:4], -v[20:21]
	s_waitcnt lgkmcnt(0)
	s_barrier
	buffer_gl0_inv
	v_mul_f64 v[10:11], v[16:17], -v[10:11]
	v_fma_f64 v[7:8], -v[16:17], v[12:13], v[7:8]
	v_fma_f64 v[12:13], -v[16:17], v[14:15], v[18:19]
	v_max_u32_e32 v14, 4, v0
	v_add_nc_u32_e32 v16, 4, v0
	ds_store_b64 v9, v[7:8] offset:4096
	ds_store_b64 v9, v[3:4]
	ds_store_b64 v5, v[12:13]
	;; [unrolled: 1-line block ×3, first 2 shown]
	v_lshlrev_b32_e32 v14, 3, v14
	s_waitcnt lgkmcnt(0)
	s_barrier
	buffer_gl0_inv
	ds_load_2addr_b64 v[10:13], v14 offset0:124 offset1:252
	ds_load_b64 v[3:4], v9
	v_cmp_gt_i32_e32 vcc_lo, s3, v16
	v_subrev_nc_u32_e32 v15, 32, v14
	ds_load_b64 v[7:8], v9 offset:4096
	ds_load_b64 v[18:19], v14 offset:4064
	ds_load_b64 v[20:21], v15
	v_cndmask_b32_e32 v14, s1, v16, vcc_lo
	s_delay_alu instid0(VALU_DEP_1)
	v_lshlrev_b32_e32 v42, 3, v14
	ds_load_2addr_stride64_b64 v[14:17], v42 offset1:2
	ds_load_b64 v[24:25], v6
	ds_load_b64 v[26:27], v5
	s_waitcnt lgkmcnt(6)
	v_div_scale_f64 v[22:23], null, v[10:11], v[10:11], v[3:4]
	v_div_scale_f64 v[38:39], vcc_lo, v[3:4], v[10:11], v[3:4]
	s_waitcnt lgkmcnt(1)
	v_div_scale_f64 v[28:29], null, v[16:17], v[16:17], v[24:25]
	s_delay_alu instid0(VALU_DEP_3) | instskip(NEXT) | instid1(VALU_DEP_1)
	v_rcp_f64_e32 v[30:31], v[22:23]
	v_rcp_f64_e32 v[32:33], v[28:29]
	s_waitcnt_depctr 0xfff
	v_fma_f64 v[34:35], -v[22:23], v[30:31], 1.0
	v_fma_f64 v[36:37], -v[28:29], v[32:33], 1.0
	s_delay_alu instid0(VALU_DEP_2) | instskip(NEXT) | instid1(VALU_DEP_2)
	v_fma_f64 v[30:31], v[30:31], v[34:35], v[30:31]
	v_fma_f64 v[32:33], v[32:33], v[36:37], v[32:33]
	s_delay_alu instid0(VALU_DEP_2) | instskip(NEXT) | instid1(VALU_DEP_2)
	v_fma_f64 v[34:35], -v[22:23], v[30:31], 1.0
	v_fma_f64 v[36:37], -v[28:29], v[32:33], 1.0
	s_delay_alu instid0(VALU_DEP_2) | instskip(SKIP_1) | instid1(VALU_DEP_3)
	v_fma_f64 v[30:31], v[30:31], v[34:35], v[30:31]
	v_div_scale_f64 v[34:35], s0, v[24:25], v[16:17], v[24:25]
	v_fma_f64 v[32:33], v[32:33], v[36:37], v[32:33]
	s_delay_alu instid0(VALU_DEP_3) | instskip(NEXT) | instid1(VALU_DEP_2)
	v_mul_f64 v[36:37], v[38:39], v[30:31]
	v_mul_f64 v[40:41], v[34:35], v[32:33]
	s_delay_alu instid0(VALU_DEP_2) | instskip(NEXT) | instid1(VALU_DEP_2)
	v_fma_f64 v[22:23], -v[22:23], v[36:37], v[38:39]
	v_fma_f64 v[28:29], -v[28:29], v[40:41], v[34:35]
	s_delay_alu instid0(VALU_DEP_2) | instskip(SKIP_1) | instid1(VALU_DEP_2)
	v_div_fmas_f64 v[22:23], v[22:23], v[30:31], v[36:37]
	s_mov_b32 vcc_lo, s0
	v_div_fmas_f64 v[28:29], v[28:29], v[32:33], v[40:41]
	s_delay_alu instid0(VALU_DEP_2) | instskip(NEXT) | instid1(VALU_DEP_2)
	v_div_fixup_f64 v[3:4], v[22:23], v[10:11], v[3:4]
	v_div_fixup_f64 v[16:17], v[28:29], v[16:17], v[24:25]
	s_delay_alu instid0(VALU_DEP_2)
	v_fma_f64 v[7:8], -v[3:4], v[18:19], v[7:8]
	s_waitcnt lgkmcnt(0)
	v_fma_f64 v[18:19], -v[3:4], v[12:13], v[26:27]
	ds_load_2addr_stride64_b64 v[10:13], v42 offset0:4 offset1:8
	v_mul_f64 v[3:4], v[3:4], -v[20:21]
	s_waitcnt lgkmcnt(0)
	s_barrier
	buffer_gl0_inv
	v_mul_f64 v[10:11], v[16:17], -v[10:11]
	v_fma_f64 v[7:8], -v[16:17], v[12:13], v[7:8]
	v_fma_f64 v[12:13], -v[16:17], v[14:15], v[18:19]
	v_max_u32_e32 v14, 8, v0
	v_add_nc_u32_e32 v16, 8, v0
	ds_store_b64 v9, v[7:8] offset:4096
	ds_store_b64 v9, v[3:4]
	ds_store_b64 v5, v[12:13]
	;; [unrolled: 1-line block ×3, first 2 shown]
	v_lshlrev_b32_e32 v14, 3, v14
	s_waitcnt lgkmcnt(0)
	s_barrier
	buffer_gl0_inv
	ds_load_2addr_b64 v[10:13], v14 offset0:120 offset1:248
	ds_load_b64 v[3:4], v9
	v_cmp_gt_i32_e32 vcc_lo, s3, v16
	v_subrev_nc_u32_e32 v15, 64, v14
	ds_load_b64 v[7:8], v9 offset:4096
	ds_load_b64 v[18:19], v14 offset:4032
	ds_load_b64 v[20:21], v15
	v_cndmask_b32_e32 v14, s1, v16, vcc_lo
	s_delay_alu instid0(VALU_DEP_1)
	v_lshlrev_b32_e32 v42, 3, v14
	ds_load_2addr_stride64_b64 v[14:17], v42 offset1:2
	ds_load_b64 v[24:25], v6
	ds_load_b64 v[26:27], v5
	s_waitcnt lgkmcnt(6)
	v_div_scale_f64 v[22:23], null, v[10:11], v[10:11], v[3:4]
	v_div_scale_f64 v[38:39], vcc_lo, v[3:4], v[10:11], v[3:4]
	s_waitcnt lgkmcnt(1)
	v_div_scale_f64 v[28:29], null, v[16:17], v[16:17], v[24:25]
	s_delay_alu instid0(VALU_DEP_3) | instskip(NEXT) | instid1(VALU_DEP_1)
	v_rcp_f64_e32 v[30:31], v[22:23]
	v_rcp_f64_e32 v[32:33], v[28:29]
	s_waitcnt_depctr 0xfff
	v_fma_f64 v[34:35], -v[22:23], v[30:31], 1.0
	v_fma_f64 v[36:37], -v[28:29], v[32:33], 1.0
	s_delay_alu instid0(VALU_DEP_2) | instskip(NEXT) | instid1(VALU_DEP_2)
	v_fma_f64 v[30:31], v[30:31], v[34:35], v[30:31]
	v_fma_f64 v[32:33], v[32:33], v[36:37], v[32:33]
	s_delay_alu instid0(VALU_DEP_2) | instskip(NEXT) | instid1(VALU_DEP_2)
	v_fma_f64 v[34:35], -v[22:23], v[30:31], 1.0
	v_fma_f64 v[36:37], -v[28:29], v[32:33], 1.0
	s_delay_alu instid0(VALU_DEP_2) | instskip(SKIP_1) | instid1(VALU_DEP_3)
	v_fma_f64 v[30:31], v[30:31], v[34:35], v[30:31]
	v_div_scale_f64 v[34:35], s0, v[24:25], v[16:17], v[24:25]
	v_fma_f64 v[32:33], v[32:33], v[36:37], v[32:33]
	s_delay_alu instid0(VALU_DEP_3) | instskip(NEXT) | instid1(VALU_DEP_2)
	v_mul_f64 v[36:37], v[38:39], v[30:31]
	v_mul_f64 v[40:41], v[34:35], v[32:33]
	s_delay_alu instid0(VALU_DEP_2) | instskip(NEXT) | instid1(VALU_DEP_2)
	v_fma_f64 v[22:23], -v[22:23], v[36:37], v[38:39]
	v_fma_f64 v[28:29], -v[28:29], v[40:41], v[34:35]
	s_delay_alu instid0(VALU_DEP_2) | instskip(SKIP_1) | instid1(VALU_DEP_2)
	v_div_fmas_f64 v[22:23], v[22:23], v[30:31], v[36:37]
	s_mov_b32 vcc_lo, s0
	v_div_fmas_f64 v[28:29], v[28:29], v[32:33], v[40:41]
	s_delay_alu instid0(VALU_DEP_2) | instskip(NEXT) | instid1(VALU_DEP_2)
	v_div_fixup_f64 v[3:4], v[22:23], v[10:11], v[3:4]
	v_div_fixup_f64 v[16:17], v[28:29], v[16:17], v[24:25]
	s_delay_alu instid0(VALU_DEP_2)
	v_fma_f64 v[7:8], -v[3:4], v[18:19], v[7:8]
	s_waitcnt lgkmcnt(0)
	v_fma_f64 v[18:19], -v[3:4], v[12:13], v[26:27]
	ds_load_2addr_stride64_b64 v[10:13], v42 offset0:4 offset1:8
	v_mul_f64 v[3:4], v[3:4], -v[20:21]
	s_waitcnt lgkmcnt(0)
	s_barrier
	buffer_gl0_inv
	v_mul_f64 v[10:11], v[16:17], -v[10:11]
	v_fma_f64 v[7:8], -v[16:17], v[12:13], v[7:8]
	v_fma_f64 v[12:13], -v[16:17], v[14:15], v[18:19]
	v_max_u32_e32 v14, 16, v0
	v_add_nc_u32_e32 v16, 16, v0
	ds_store_b64 v9, v[7:8] offset:4096
	ds_store_b64 v9, v[3:4]
	ds_store_b64 v5, v[12:13]
	;; [unrolled: 1-line block ×3, first 2 shown]
	v_lshlrev_b32_e32 v14, 3, v14
	s_waitcnt lgkmcnt(0)
	s_barrier
	buffer_gl0_inv
	ds_load_2addr_b64 v[10:13], v14 offset0:112 offset1:240
	ds_load_b64 v[3:4], v9
	v_cmp_gt_i32_e32 vcc_lo, s3, v16
	v_add_nc_u32_e32 v15, 0xffffff80, v14
	ds_load_b64 v[7:8], v9 offset:4096
	ds_load_b64 v[18:19], v14 offset:3968
	ds_load_b64 v[20:21], v15
	v_cndmask_b32_e32 v14, s1, v16, vcc_lo
	s_delay_alu instid0(VALU_DEP_1)
	v_lshlrev_b32_e32 v42, 3, v14
	ds_load_2addr_stride64_b64 v[14:17], v42 offset1:2
	ds_load_b64 v[24:25], v6
	ds_load_b64 v[26:27], v5
	s_waitcnt lgkmcnt(6)
	v_div_scale_f64 v[22:23], null, v[10:11], v[10:11], v[3:4]
	v_div_scale_f64 v[38:39], vcc_lo, v[3:4], v[10:11], v[3:4]
	s_waitcnt lgkmcnt(1)
	v_div_scale_f64 v[28:29], null, v[16:17], v[16:17], v[24:25]
	s_delay_alu instid0(VALU_DEP_3) | instskip(NEXT) | instid1(VALU_DEP_1)
	v_rcp_f64_e32 v[30:31], v[22:23]
	v_rcp_f64_e32 v[32:33], v[28:29]
	s_waitcnt_depctr 0xfff
	v_fma_f64 v[34:35], -v[22:23], v[30:31], 1.0
	v_fma_f64 v[36:37], -v[28:29], v[32:33], 1.0
	s_delay_alu instid0(VALU_DEP_2) | instskip(NEXT) | instid1(VALU_DEP_2)
	v_fma_f64 v[30:31], v[30:31], v[34:35], v[30:31]
	v_fma_f64 v[32:33], v[32:33], v[36:37], v[32:33]
	s_delay_alu instid0(VALU_DEP_2) | instskip(NEXT) | instid1(VALU_DEP_2)
	v_fma_f64 v[34:35], -v[22:23], v[30:31], 1.0
	v_fma_f64 v[36:37], -v[28:29], v[32:33], 1.0
	s_delay_alu instid0(VALU_DEP_2) | instskip(SKIP_1) | instid1(VALU_DEP_3)
	v_fma_f64 v[30:31], v[30:31], v[34:35], v[30:31]
	v_div_scale_f64 v[34:35], s0, v[24:25], v[16:17], v[24:25]
	v_fma_f64 v[32:33], v[32:33], v[36:37], v[32:33]
	s_delay_alu instid0(VALU_DEP_3) | instskip(NEXT) | instid1(VALU_DEP_2)
	v_mul_f64 v[36:37], v[38:39], v[30:31]
	v_mul_f64 v[40:41], v[34:35], v[32:33]
	s_delay_alu instid0(VALU_DEP_2) | instskip(NEXT) | instid1(VALU_DEP_2)
	v_fma_f64 v[22:23], -v[22:23], v[36:37], v[38:39]
	v_fma_f64 v[28:29], -v[28:29], v[40:41], v[34:35]
	s_delay_alu instid0(VALU_DEP_2) | instskip(SKIP_1) | instid1(VALU_DEP_2)
	v_div_fmas_f64 v[22:23], v[22:23], v[30:31], v[36:37]
	s_mov_b32 vcc_lo, s0
	v_div_fmas_f64 v[28:29], v[28:29], v[32:33], v[40:41]
	s_delay_alu instid0(VALU_DEP_2) | instskip(NEXT) | instid1(VALU_DEP_2)
	v_div_fixup_f64 v[3:4], v[22:23], v[10:11], v[3:4]
	v_div_fixup_f64 v[16:17], v[28:29], v[16:17], v[24:25]
	s_delay_alu instid0(VALU_DEP_2)
	v_fma_f64 v[7:8], -v[3:4], v[18:19], v[7:8]
	s_waitcnt lgkmcnt(0)
	v_fma_f64 v[18:19], -v[3:4], v[12:13], v[26:27]
	ds_load_2addr_stride64_b64 v[10:13], v42 offset0:4 offset1:8
	v_mul_f64 v[3:4], v[3:4], -v[20:21]
	s_waitcnt lgkmcnt(0)
	s_barrier
	buffer_gl0_inv
	v_mul_f64 v[10:11], v[16:17], -v[10:11]
	v_fma_f64 v[7:8], -v[16:17], v[12:13], v[7:8]
	v_fma_f64 v[12:13], -v[16:17], v[14:15], v[18:19]
	v_max_u32_e32 v14, 32, v0
	v_add_nc_u32_e32 v16, 32, v0
	ds_store_b64 v9, v[7:8] offset:4096
	ds_store_b64 v9, v[3:4]
	ds_store_b64 v5, v[12:13]
	ds_store_b64 v6, v[10:11]
	v_lshlrev_b32_e32 v14, 3, v14
	s_waitcnt lgkmcnt(0)
	s_barrier
	buffer_gl0_inv
	ds_load_2addr_b64 v[10:13], v14 offset0:96 offset1:224
	ds_load_b64 v[3:4], v9
	v_cmp_gt_i32_e32 vcc_lo, s3, v16
	v_add_nc_u32_e32 v15, 0xffffff00, v14
	ds_load_b64 v[7:8], v9 offset:4096
	ds_load_b64 v[18:19], v14 offset:3840
	ds_load_b64 v[20:21], v15
	v_cndmask_b32_e32 v14, s1, v16, vcc_lo
	s_delay_alu instid0(VALU_DEP_1)
	v_lshlrev_b32_e32 v42, 3, v14
	ds_load_2addr_stride64_b64 v[14:17], v42 offset1:2
	ds_load_b64 v[24:25], v6
	ds_load_b64 v[26:27], v5
	s_waitcnt lgkmcnt(6)
	v_div_scale_f64 v[22:23], null, v[10:11], v[10:11], v[3:4]
	v_div_scale_f64 v[38:39], vcc_lo, v[3:4], v[10:11], v[3:4]
	s_waitcnt lgkmcnt(1)
	v_div_scale_f64 v[28:29], null, v[16:17], v[16:17], v[24:25]
	s_delay_alu instid0(VALU_DEP_3) | instskip(NEXT) | instid1(VALU_DEP_1)
	v_rcp_f64_e32 v[30:31], v[22:23]
	v_rcp_f64_e32 v[32:33], v[28:29]
	s_waitcnt_depctr 0xfff
	v_fma_f64 v[34:35], -v[22:23], v[30:31], 1.0
	v_fma_f64 v[36:37], -v[28:29], v[32:33], 1.0
	s_delay_alu instid0(VALU_DEP_2) | instskip(NEXT) | instid1(VALU_DEP_2)
	v_fma_f64 v[30:31], v[30:31], v[34:35], v[30:31]
	v_fma_f64 v[32:33], v[32:33], v[36:37], v[32:33]
	s_delay_alu instid0(VALU_DEP_2) | instskip(NEXT) | instid1(VALU_DEP_2)
	v_fma_f64 v[34:35], -v[22:23], v[30:31], 1.0
	v_fma_f64 v[36:37], -v[28:29], v[32:33], 1.0
	s_delay_alu instid0(VALU_DEP_2) | instskip(SKIP_1) | instid1(VALU_DEP_3)
	v_fma_f64 v[30:31], v[30:31], v[34:35], v[30:31]
	v_div_scale_f64 v[34:35], s0, v[24:25], v[16:17], v[24:25]
	v_fma_f64 v[32:33], v[32:33], v[36:37], v[32:33]
	s_delay_alu instid0(VALU_DEP_3) | instskip(NEXT) | instid1(VALU_DEP_2)
	v_mul_f64 v[36:37], v[38:39], v[30:31]
	v_mul_f64 v[40:41], v[34:35], v[32:33]
	s_delay_alu instid0(VALU_DEP_2) | instskip(NEXT) | instid1(VALU_DEP_2)
	v_fma_f64 v[22:23], -v[22:23], v[36:37], v[38:39]
	v_fma_f64 v[28:29], -v[28:29], v[40:41], v[34:35]
	s_delay_alu instid0(VALU_DEP_2) | instskip(SKIP_2) | instid1(VALU_DEP_2)
	v_div_fmas_f64 v[22:23], v[22:23], v[30:31], v[36:37]
	s_mov_b32 vcc_lo, s0
	s_mov_b32 s0, exec_lo
	v_div_fmas_f64 v[28:29], v[28:29], v[32:33], v[40:41]
	s_delay_alu instid0(VALU_DEP_2) | instskip(NEXT) | instid1(VALU_DEP_2)
	v_div_fixup_f64 v[3:4], v[22:23], v[10:11], v[3:4]
	v_div_fixup_f64 v[16:17], v[28:29], v[16:17], v[24:25]
	s_delay_alu instid0(VALU_DEP_2)
	v_fma_f64 v[7:8], -v[3:4], v[18:19], v[7:8]
	s_waitcnt lgkmcnt(0)
	v_fma_f64 v[18:19], -v[3:4], v[12:13], v[26:27]
	ds_load_2addr_stride64_b64 v[10:13], v42 offset0:4 offset1:8
	v_mul_f64 v[3:4], v[3:4], -v[20:21]
	s_waitcnt lgkmcnt(0)
	s_barrier
	buffer_gl0_inv
	v_mul_f64 v[10:11], v[16:17], -v[10:11]
	v_fma_f64 v[7:8], -v[16:17], v[12:13], v[7:8]
	v_fma_f64 v[12:13], -v[16:17], v[14:15], v[18:19]
	ds_store_b64 v9, v[7:8] offset:4096
	ds_store_b64 v9, v[3:4]
	ds_store_b64 v5, v[12:13]
	;; [unrolled: 1-line block ×3, first 2 shown]
	s_waitcnt lgkmcnt(0)
	s_barrier
	buffer_gl0_inv
	v_cmpx_gt_u32_e32 64, v0
	s_cbranch_execz .LBB35_14
; %bb.9:
	v_or_b32_e32 v7, 64, v0
	v_or_b32_e32 v8, 0x1000, v9
	s_mov_b32 s1, exec_lo
                                        ; implicit-def: $vgpr3_vgpr4
	s_delay_alu instid0(VALU_DEP_2)
	v_cmpx_le_i32_e64 s3, v7
	s_xor_b32 s1, exec_lo, s1
	s_cbranch_execz .LBB35_11
; %bb.10:
	ds_load_b64 v[3:4], v8
	ds_load_b64 v[5:6], v5
	s_waitcnt lgkmcnt(0)
	v_div_scale_f64 v[7:8], null, v[5:6], v[5:6], v[3:4]
	s_delay_alu instid0(VALU_DEP_1) | instskip(SKIP_2) | instid1(VALU_DEP_1)
	v_rcp_f64_e32 v[10:11], v[7:8]
	s_waitcnt_depctr 0xfff
	v_fma_f64 v[12:13], -v[7:8], v[10:11], 1.0
	v_fma_f64 v[10:11], v[10:11], v[12:13], v[10:11]
	s_delay_alu instid0(VALU_DEP_1) | instskip(NEXT) | instid1(VALU_DEP_1)
	v_fma_f64 v[12:13], -v[7:8], v[10:11], 1.0
	v_fma_f64 v[10:11], v[10:11], v[12:13], v[10:11]
	v_div_scale_f64 v[12:13], vcc_lo, v[3:4], v[5:6], v[3:4]
	s_delay_alu instid0(VALU_DEP_1) | instskip(NEXT) | instid1(VALU_DEP_1)
	v_mul_f64 v[14:15], v[12:13], v[10:11]
	v_fma_f64 v[7:8], -v[7:8], v[14:15], v[12:13]
	s_delay_alu instid0(VALU_DEP_1) | instskip(NEXT) | instid1(VALU_DEP_1)
	v_div_fmas_f64 v[7:8], v[7:8], v[10:11], v[14:15]
	v_div_fixup_f64 v[3:4], v[7:8], v[5:6], v[3:4]
                                        ; implicit-def: $vgpr5
                                        ; implicit-def: $vgpr6
                                        ; implicit-def: $vgpr8
                                        ; implicit-def: $vgpr7
.LBB35_11:
	s_and_not1_saveexec_b32 s1, s1
	s_cbranch_execz .LBB35_13
; %bb.12:
	ds_load_b64 v[14:15], v6
	ds_load_b64 v[16:17], v9 offset:512
	ds_load_2addr_stride64_b64 v[3:6], v5 offset1:1
	v_mov_b32_e32 v0, v7
	s_waitcnt lgkmcnt(1)
	v_mul_f64 v[10:11], v[14:15], v[16:17]
	s_waitcnt lgkmcnt(0)
	s_delay_alu instid0(VALU_DEP_1) | instskip(NEXT) | instid1(VALU_DEP_1)
	v_fma_f64 v[18:19], v[5:6], v[3:4], -v[10:11]
	v_div_scale_f64 v[10:11], null, v[18:19], v[18:19], 1.0
	v_div_scale_f64 v[22:23], vcc_lo, 1.0, v[18:19], 1.0
	s_delay_alu instid0(VALU_DEP_2) | instskip(SKIP_2) | instid1(VALU_DEP_1)
	v_rcp_f64_e32 v[12:13], v[10:11]
	s_waitcnt_depctr 0xfff
	v_fma_f64 v[20:21], -v[10:11], v[12:13], 1.0
	v_fma_f64 v[12:13], v[12:13], v[20:21], v[12:13]
	s_delay_alu instid0(VALU_DEP_1) | instskip(NEXT) | instid1(VALU_DEP_1)
	v_fma_f64 v[20:21], -v[10:11], v[12:13], 1.0
	v_fma_f64 v[20:21], v[12:13], v[20:21], v[12:13]
	s_delay_alu instid0(VALU_DEP_1) | instskip(NEXT) | instid1(VALU_DEP_1)
	v_mul_f64 v[24:25], v[22:23], v[20:21]
	v_fma_f64 v[22:23], -v[10:11], v[24:25], v[22:23]
	ds_load_2addr_stride64_b64 v[10:13], v8 offset1:1
	s_waitcnt lgkmcnt(0)
	v_mul_f64 v[14:15], v[14:15], v[12:13]
	v_mul_f64 v[16:17], v[16:17], v[10:11]
	v_div_fmas_f64 v[20:21], v[22:23], v[20:21], v[24:25]
	s_delay_alu instid0(VALU_DEP_3) | instskip(NEXT) | instid1(VALU_DEP_3)
	v_fma_f64 v[5:6], v[5:6], v[10:11], -v[14:15]
	v_fma_f64 v[3:4], v[3:4], v[12:13], -v[16:17]
	s_delay_alu instid0(VALU_DEP_3) | instskip(NEXT) | instid1(VALU_DEP_1)
	v_div_fixup_f64 v[18:19], v[20:21], v[18:19], 1.0
	v_mul_f64 v[5:6], v[18:19], v[5:6]
	s_delay_alu instid0(VALU_DEP_3)
	v_mul_f64 v[3:4], v[18:19], v[3:4]
	ds_store_b64 v9, v[5:6] offset:3072
.LBB35_13:
	s_or_b32 exec_lo, exec_lo, s1
	v_lshlrev_b32_e32 v0, 3, v0
	ds_store_b64 v0, v[3:4] offset:3072
.LBB35_14:
	s_or_b32 exec_lo, exec_lo, s0
	s_waitcnt lgkmcnt(0)
	s_barrier
	buffer_gl0_inv
	s_and_saveexec_b32 s0, s2
	s_cbranch_execz .LBB35_16
; %bb.15:
	ds_load_b64 v[3:4], v9 offset:3072
	v_lshlrev_b64 v[0:1], 3, v[1:2]
	s_delay_alu instid0(VALU_DEP_1) | instskip(NEXT) | instid1(VALU_DEP_2)
	v_add_co_u32 v0, vcc_lo, s4, v0
	v_add_co_ci_u32_e32 v1, vcc_lo, s5, v1, vcc_lo
	s_waitcnt lgkmcnt(0)
	global_store_b64 v[0:1], v[3:4], off
.LBB35_16:
	s_nop 0
	s_sendmsg sendmsg(MSG_DEALLOC_VGPRS)
	s_endpgm
	.section	.rodata,"a",@progbits
	.p2align	6, 0x0
	.amdhsa_kernel _ZN9rocsparseL44gtsv_nopivot_strided_batch_pcr_shared_kernelILj128EdEEviiiPKT0_S3_S3_PS1_
		.amdhsa_group_segment_fixed_size 5120
		.amdhsa_private_segment_fixed_size 0
		.amdhsa_kernarg_size 48
		.amdhsa_user_sgpr_count 15
		.amdhsa_user_sgpr_dispatch_ptr 0
		.amdhsa_user_sgpr_queue_ptr 0
		.amdhsa_user_sgpr_kernarg_segment_ptr 1
		.amdhsa_user_sgpr_dispatch_id 0
		.amdhsa_user_sgpr_private_segment_size 0
		.amdhsa_wavefront_size32 1
		.amdhsa_uses_dynamic_stack 0
		.amdhsa_enable_private_segment 0
		.amdhsa_system_sgpr_workgroup_id_x 1
		.amdhsa_system_sgpr_workgroup_id_y 0
		.amdhsa_system_sgpr_workgroup_id_z 0
		.amdhsa_system_sgpr_workgroup_info 0
		.amdhsa_system_vgpr_workitem_id 0
		.amdhsa_next_free_vgpr 43
		.amdhsa_next_free_sgpr 16
		.amdhsa_reserve_vcc 1
		.amdhsa_float_round_mode_32 0
		.amdhsa_float_round_mode_16_64 0
		.amdhsa_float_denorm_mode_32 3
		.amdhsa_float_denorm_mode_16_64 3
		.amdhsa_dx10_clamp 1
		.amdhsa_ieee_mode 1
		.amdhsa_fp16_overflow 0
		.amdhsa_workgroup_processor_mode 1
		.amdhsa_memory_ordered 1
		.amdhsa_forward_progress 0
		.amdhsa_shared_vgpr_count 0
		.amdhsa_exception_fp_ieee_invalid_op 0
		.amdhsa_exception_fp_denorm_src 0
		.amdhsa_exception_fp_ieee_div_zero 0
		.amdhsa_exception_fp_ieee_overflow 0
		.amdhsa_exception_fp_ieee_underflow 0
		.amdhsa_exception_fp_ieee_inexact 0
		.amdhsa_exception_int_div_zero 0
	.end_amdhsa_kernel
	.section	.text._ZN9rocsparseL44gtsv_nopivot_strided_batch_pcr_shared_kernelILj128EdEEviiiPKT0_S3_S3_PS1_,"axG",@progbits,_ZN9rocsparseL44gtsv_nopivot_strided_batch_pcr_shared_kernelILj128EdEEviiiPKT0_S3_S3_PS1_,comdat
.Lfunc_end35:
	.size	_ZN9rocsparseL44gtsv_nopivot_strided_batch_pcr_shared_kernelILj128EdEEviiiPKT0_S3_S3_PS1_, .Lfunc_end35-_ZN9rocsparseL44gtsv_nopivot_strided_batch_pcr_shared_kernelILj128EdEEviiiPKT0_S3_S3_PS1_
                                        ; -- End function
	.section	.AMDGPU.csdata,"",@progbits
; Kernel info:
; codeLenInByte = 3564
; NumSgprs: 18
; NumVgprs: 43
; ScratchSize: 0
; MemoryBound: 0
; FloatMode: 240
; IeeeMode: 1
; LDSByteSize: 5120 bytes/workgroup (compile time only)
; SGPRBlocks: 2
; VGPRBlocks: 5
; NumSGPRsForWavesPerEU: 18
; NumVGPRsForWavesPerEU: 43
; Occupancy: 16
; WaveLimiterHint : 0
; COMPUTE_PGM_RSRC2:SCRATCH_EN: 0
; COMPUTE_PGM_RSRC2:USER_SGPR: 15
; COMPUTE_PGM_RSRC2:TRAP_HANDLER: 0
; COMPUTE_PGM_RSRC2:TGID_X_EN: 1
; COMPUTE_PGM_RSRC2:TGID_Y_EN: 0
; COMPUTE_PGM_RSRC2:TGID_Z_EN: 0
; COMPUTE_PGM_RSRC2:TIDIG_COMP_CNT: 0
	.section	.text._ZN9rocsparseL44gtsv_nopivot_strided_batch_pcr_shared_kernelILj256EdEEviiiPKT0_S3_S3_PS1_,"axG",@progbits,_ZN9rocsparseL44gtsv_nopivot_strided_batch_pcr_shared_kernelILj256EdEEviiiPKT0_S3_S3_PS1_,comdat
	.globl	_ZN9rocsparseL44gtsv_nopivot_strided_batch_pcr_shared_kernelILj256EdEEviiiPKT0_S3_S3_PS1_ ; -- Begin function _ZN9rocsparseL44gtsv_nopivot_strided_batch_pcr_shared_kernelILj256EdEEviiiPKT0_S3_S3_PS1_
	.p2align	8
	.type	_ZN9rocsparseL44gtsv_nopivot_strided_batch_pcr_shared_kernelILj256EdEEviiiPKT0_S3_S3_PS1_,@function
_ZN9rocsparseL44gtsv_nopivot_strided_batch_pcr_shared_kernelILj256EdEEviiiPKT0_S3_S3_PS1_: ; @_ZN9rocsparseL44gtsv_nopivot_strided_batch_pcr_shared_kernelILj256EdEEviiiPKT0_S3_S3_PS1_
; %bb.0:
	s_clause 0x1
	s_load_b32 s2, s[0:1], 0x8
	s_load_b32 s3, s[0:1], 0x0
	v_mov_b32_e32 v5, 0
	v_mov_b32_e32 v6, 0
	s_delay_alu instid0(VALU_DEP_1) | instskip(SKIP_3) | instid1(VALU_DEP_2)
	v_dual_mov_b32 v3, v5 :: v_dual_mov_b32 v4, v6
	s_waitcnt lgkmcnt(0)
	v_mad_u64_u32 v[1:2], null, s15, s2, v[0:1]
	v_cmp_gt_i32_e64 s2, s3, v0
	v_ashrrev_i32_e32 v2, 31, v1
	s_delay_alu instid0(VALU_DEP_2)
	s_and_saveexec_b32 s4, s2
	s_cbranch_execz .LBB36_2
; %bb.1:
	s_load_b64 s[6:7], s[0:1], 0x10
	s_delay_alu instid0(VALU_DEP_1) | instskip(SKIP_1) | instid1(VALU_DEP_1)
	v_lshlrev_b64 v[3:4], 3, v[1:2]
	s_waitcnt lgkmcnt(0)
	v_add_co_u32 v3, vcc_lo, s6, v3
	s_delay_alu instid0(VALU_DEP_2)
	v_add_co_ci_u32_e32 v4, vcc_lo, s7, v4, vcc_lo
	global_load_b64 v[3:4], v[3:4], off
.LBB36_2:
	s_or_b32 exec_lo, exec_lo, s4
	v_lshlrev_b32_e32 v9, 3, v0
	s_waitcnt vmcnt(0)
	ds_store_b64 v9, v[3:4]
	s_and_saveexec_b32 s4, s2
	s_cbranch_execz .LBB36_4
; %bb.3:
	s_load_b64 s[6:7], s[0:1], 0x18
	v_lshlrev_b64 v[3:4], 3, v[1:2]
	s_waitcnt lgkmcnt(0)
	s_delay_alu instid0(VALU_DEP_1) | instskip(NEXT) | instid1(VALU_DEP_2)
	v_add_co_u32 v3, vcc_lo, s6, v3
	v_add_co_ci_u32_e32 v4, vcc_lo, s7, v4, vcc_lo
	global_load_b64 v[5:6], v[3:4], off
.LBB36_4:
	s_or_b32 exec_lo, exec_lo, s4
	s_load_b64 s[4:5], s[0:1], 0x28
	v_mov_b32_e32 v3, 0
	v_mov_b32_e32 v4, 0
	s_waitcnt vmcnt(0)
	ds_store_b64 v9, v[5:6] offset:2048
	v_dual_mov_b32 v8, v4 :: v_dual_mov_b32 v7, v3
	s_and_saveexec_b32 s6, s2
	s_cbranch_execz .LBB36_6
; %bb.5:
	s_load_b64 s[0:1], s[0:1], 0x20
	v_lshlrev_b64 v[5:6], 3, v[1:2]
	s_waitcnt lgkmcnt(0)
	s_delay_alu instid0(VALU_DEP_1) | instskip(NEXT) | instid1(VALU_DEP_2)
	v_add_co_u32 v5, vcc_lo, s0, v5
	v_add_co_ci_u32_e32 v6, vcc_lo, s1, v6, vcc_lo
	global_load_b64 v[7:8], v[5:6], off
.LBB36_6:
	s_or_b32 exec_lo, exec_lo, s6
	v_or_b32_e32 v5, 0x800, v9
	v_or_b32_e32 v6, 0x1000, v9
	s_waitcnt vmcnt(0)
	ds_store_b64 v9, v[7:8] offset:4096
	s_and_saveexec_b32 s0, s2
	s_cbranch_execz .LBB36_8
; %bb.7:
	v_lshlrev_b64 v[3:4], 3, v[1:2]
	s_waitcnt lgkmcnt(0)
	s_delay_alu instid0(VALU_DEP_1) | instskip(NEXT) | instid1(VALU_DEP_2)
	v_add_co_u32 v3, vcc_lo, s4, v3
	v_add_co_ci_u32_e32 v4, vcc_lo, s5, v4, vcc_lo
	global_load_b64 v[3:4], v[3:4], off
.LBB36_8:
	s_or_b32 exec_lo, exec_lo, s0
	v_max_u32_e32 v7, 1, v0
	s_waitcnt vmcnt(0)
	ds_store_b64 v9, v[3:4] offset:8192
	s_waitcnt lgkmcnt(0)
	s_barrier
	buffer_gl0_inv
	v_lshlrev_b32_e32 v14, 3, v7
	v_add_nc_u32_e32 v16, 1, v0
	s_add_i32 s1, s3, -1
	s_delay_alu instid0(VALU_DEP_2) | instskip(NEXT) | instid1(VALU_DEP_2)
	v_add_nc_u32_e32 v7, 0x1f8, v14
	v_cmp_gt_i32_e32 vcc_lo, s3, v16
	v_add_nc_u32_e32 v15, -8, v14
	ds_load_2addr_stride64_b64 v[10:13], v7 offset0:3 offset1:7
	ds_load_b64 v[3:4], v9
	ds_load_b64 v[7:8], v9 offset:8192
	ds_load_b64 v[18:19], v14 offset:8184
	ds_load_b64 v[20:21], v15
	v_cndmask_b32_e32 v14, s1, v16, vcc_lo
	s_delay_alu instid0(VALU_DEP_1)
	v_lshlrev_b32_e32 v42, 3, v14
	ds_load_2addr_stride64_b64 v[14:17], v42 offset1:4
	ds_load_b64 v[24:25], v6
	ds_load_b64 v[26:27], v5
	s_waitcnt lgkmcnt(6)
	v_div_scale_f64 v[22:23], null, v[10:11], v[10:11], v[3:4]
	v_div_scale_f64 v[38:39], vcc_lo, v[3:4], v[10:11], v[3:4]
	s_waitcnt lgkmcnt(1)
	v_div_scale_f64 v[28:29], null, v[16:17], v[16:17], v[24:25]
	s_delay_alu instid0(VALU_DEP_3) | instskip(NEXT) | instid1(VALU_DEP_1)
	v_rcp_f64_e32 v[30:31], v[22:23]
	v_rcp_f64_e32 v[32:33], v[28:29]
	s_waitcnt_depctr 0xfff
	v_fma_f64 v[34:35], -v[22:23], v[30:31], 1.0
	v_fma_f64 v[36:37], -v[28:29], v[32:33], 1.0
	s_delay_alu instid0(VALU_DEP_2) | instskip(NEXT) | instid1(VALU_DEP_2)
	v_fma_f64 v[30:31], v[30:31], v[34:35], v[30:31]
	v_fma_f64 v[32:33], v[32:33], v[36:37], v[32:33]
	s_delay_alu instid0(VALU_DEP_2) | instskip(NEXT) | instid1(VALU_DEP_2)
	v_fma_f64 v[34:35], -v[22:23], v[30:31], 1.0
	v_fma_f64 v[36:37], -v[28:29], v[32:33], 1.0
	s_delay_alu instid0(VALU_DEP_2) | instskip(SKIP_1) | instid1(VALU_DEP_3)
	v_fma_f64 v[30:31], v[30:31], v[34:35], v[30:31]
	v_div_scale_f64 v[34:35], s0, v[24:25], v[16:17], v[24:25]
	v_fma_f64 v[32:33], v[32:33], v[36:37], v[32:33]
	s_delay_alu instid0(VALU_DEP_3) | instskip(NEXT) | instid1(VALU_DEP_2)
	v_mul_f64 v[36:37], v[38:39], v[30:31]
	v_mul_f64 v[40:41], v[34:35], v[32:33]
	s_delay_alu instid0(VALU_DEP_2) | instskip(NEXT) | instid1(VALU_DEP_2)
	v_fma_f64 v[22:23], -v[22:23], v[36:37], v[38:39]
	v_fma_f64 v[28:29], -v[28:29], v[40:41], v[34:35]
	s_delay_alu instid0(VALU_DEP_2) | instskip(SKIP_1) | instid1(VALU_DEP_2)
	v_div_fmas_f64 v[22:23], v[22:23], v[30:31], v[36:37]
	s_mov_b32 vcc_lo, s0
	v_div_fmas_f64 v[28:29], v[28:29], v[32:33], v[40:41]
	s_delay_alu instid0(VALU_DEP_2) | instskip(NEXT) | instid1(VALU_DEP_2)
	v_div_fixup_f64 v[3:4], v[22:23], v[10:11], v[3:4]
	v_div_fixup_f64 v[16:17], v[28:29], v[16:17], v[24:25]
	s_delay_alu instid0(VALU_DEP_2)
	v_fma_f64 v[7:8], -v[3:4], v[18:19], v[7:8]
	s_waitcnt lgkmcnt(0)
	v_fma_f64 v[18:19], -v[3:4], v[12:13], v[26:27]
	ds_load_2addr_stride64_b64 v[10:13], v42 offset0:8 offset1:16
	v_mul_f64 v[3:4], v[3:4], -v[20:21]
	s_waitcnt lgkmcnt(0)
	s_barrier
	buffer_gl0_inv
	v_mul_f64 v[10:11], v[16:17], -v[10:11]
	v_fma_f64 v[7:8], -v[16:17], v[12:13], v[7:8]
	v_fma_f64 v[12:13], -v[16:17], v[14:15], v[18:19]
	v_max_u32_e32 v14, 2, v0
	v_add_nc_u32_e32 v16, 2, v0
	ds_store_b64 v9, v[7:8] offset:8192
	ds_store_b64 v9, v[3:4]
	ds_store_b64 v5, v[12:13]
	;; [unrolled: 1-line block ×3, first 2 shown]
	v_lshlrev_b32_e32 v14, 3, v14
	s_waitcnt lgkmcnt(0)
	s_barrier
	buffer_gl0_inv
	v_cmp_gt_i32_e32 vcc_lo, s3, v16
	v_add_nc_u32_e32 v15, 0x1f0, v14
	ds_load_2addr_stride64_b64 v[10:13], v15 offset0:3 offset1:7
	ds_load_b64 v[3:4], v9
	v_add_nc_u32_e32 v15, -16, v14
	ds_load_b64 v[7:8], v9 offset:8192
	ds_load_b64 v[18:19], v14 offset:8176
	ds_load_b64 v[20:21], v15
	v_cndmask_b32_e32 v14, s1, v16, vcc_lo
	s_delay_alu instid0(VALU_DEP_1)
	v_lshlrev_b32_e32 v42, 3, v14
	ds_load_2addr_stride64_b64 v[14:17], v42 offset1:4
	ds_load_b64 v[24:25], v6
	ds_load_b64 v[26:27], v5
	s_waitcnt lgkmcnt(6)
	v_div_scale_f64 v[22:23], null, v[10:11], v[10:11], v[3:4]
	v_div_scale_f64 v[38:39], vcc_lo, v[3:4], v[10:11], v[3:4]
	s_waitcnt lgkmcnt(1)
	v_div_scale_f64 v[28:29], null, v[16:17], v[16:17], v[24:25]
	s_delay_alu instid0(VALU_DEP_3) | instskip(NEXT) | instid1(VALU_DEP_1)
	v_rcp_f64_e32 v[30:31], v[22:23]
	v_rcp_f64_e32 v[32:33], v[28:29]
	s_waitcnt_depctr 0xfff
	v_fma_f64 v[34:35], -v[22:23], v[30:31], 1.0
	v_fma_f64 v[36:37], -v[28:29], v[32:33], 1.0
	s_delay_alu instid0(VALU_DEP_2) | instskip(NEXT) | instid1(VALU_DEP_2)
	v_fma_f64 v[30:31], v[30:31], v[34:35], v[30:31]
	v_fma_f64 v[32:33], v[32:33], v[36:37], v[32:33]
	s_delay_alu instid0(VALU_DEP_2) | instskip(NEXT) | instid1(VALU_DEP_2)
	v_fma_f64 v[34:35], -v[22:23], v[30:31], 1.0
	v_fma_f64 v[36:37], -v[28:29], v[32:33], 1.0
	s_delay_alu instid0(VALU_DEP_2) | instskip(SKIP_1) | instid1(VALU_DEP_3)
	v_fma_f64 v[30:31], v[30:31], v[34:35], v[30:31]
	v_div_scale_f64 v[34:35], s0, v[24:25], v[16:17], v[24:25]
	v_fma_f64 v[32:33], v[32:33], v[36:37], v[32:33]
	s_delay_alu instid0(VALU_DEP_3) | instskip(NEXT) | instid1(VALU_DEP_2)
	v_mul_f64 v[36:37], v[38:39], v[30:31]
	v_mul_f64 v[40:41], v[34:35], v[32:33]
	s_delay_alu instid0(VALU_DEP_2) | instskip(NEXT) | instid1(VALU_DEP_2)
	v_fma_f64 v[22:23], -v[22:23], v[36:37], v[38:39]
	v_fma_f64 v[28:29], -v[28:29], v[40:41], v[34:35]
	s_delay_alu instid0(VALU_DEP_2) | instskip(SKIP_1) | instid1(VALU_DEP_2)
	v_div_fmas_f64 v[22:23], v[22:23], v[30:31], v[36:37]
	s_mov_b32 vcc_lo, s0
	v_div_fmas_f64 v[28:29], v[28:29], v[32:33], v[40:41]
	s_delay_alu instid0(VALU_DEP_2) | instskip(NEXT) | instid1(VALU_DEP_2)
	v_div_fixup_f64 v[3:4], v[22:23], v[10:11], v[3:4]
	v_div_fixup_f64 v[16:17], v[28:29], v[16:17], v[24:25]
	s_delay_alu instid0(VALU_DEP_2)
	v_fma_f64 v[7:8], -v[3:4], v[18:19], v[7:8]
	s_waitcnt lgkmcnt(0)
	v_fma_f64 v[18:19], -v[3:4], v[12:13], v[26:27]
	ds_load_2addr_stride64_b64 v[10:13], v42 offset0:8 offset1:16
	v_mul_f64 v[3:4], v[3:4], -v[20:21]
	s_waitcnt lgkmcnt(0)
	s_barrier
	buffer_gl0_inv
	v_mul_f64 v[10:11], v[16:17], -v[10:11]
	v_fma_f64 v[7:8], -v[16:17], v[12:13], v[7:8]
	v_fma_f64 v[12:13], -v[16:17], v[14:15], v[18:19]
	v_max_u32_e32 v14, 4, v0
	v_add_nc_u32_e32 v16, 4, v0
	ds_store_b64 v9, v[7:8] offset:8192
	ds_store_b64 v9, v[3:4]
	ds_store_b64 v5, v[12:13]
	;; [unrolled: 1-line block ×3, first 2 shown]
	v_lshlrev_b32_e32 v14, 3, v14
	s_waitcnt lgkmcnt(0)
	s_barrier
	buffer_gl0_inv
	v_cmp_gt_i32_e32 vcc_lo, s3, v16
	v_add_nc_u32_e32 v15, 0x1e0, v14
	ds_load_2addr_stride64_b64 v[10:13], v15 offset0:3 offset1:7
	ds_load_b64 v[3:4], v9
	v_subrev_nc_u32_e32 v15, 32, v14
	ds_load_b64 v[7:8], v9 offset:8192
	ds_load_b64 v[18:19], v14 offset:8160
	ds_load_b64 v[20:21], v15
	v_cndmask_b32_e32 v14, s1, v16, vcc_lo
	s_delay_alu instid0(VALU_DEP_1)
	v_lshlrev_b32_e32 v42, 3, v14
	ds_load_2addr_stride64_b64 v[14:17], v42 offset1:4
	ds_load_b64 v[24:25], v6
	ds_load_b64 v[26:27], v5
	s_waitcnt lgkmcnt(6)
	v_div_scale_f64 v[22:23], null, v[10:11], v[10:11], v[3:4]
	v_div_scale_f64 v[38:39], vcc_lo, v[3:4], v[10:11], v[3:4]
	s_waitcnt lgkmcnt(1)
	v_div_scale_f64 v[28:29], null, v[16:17], v[16:17], v[24:25]
	s_delay_alu instid0(VALU_DEP_3) | instskip(NEXT) | instid1(VALU_DEP_1)
	v_rcp_f64_e32 v[30:31], v[22:23]
	v_rcp_f64_e32 v[32:33], v[28:29]
	s_waitcnt_depctr 0xfff
	v_fma_f64 v[34:35], -v[22:23], v[30:31], 1.0
	v_fma_f64 v[36:37], -v[28:29], v[32:33], 1.0
	s_delay_alu instid0(VALU_DEP_2) | instskip(NEXT) | instid1(VALU_DEP_2)
	v_fma_f64 v[30:31], v[30:31], v[34:35], v[30:31]
	v_fma_f64 v[32:33], v[32:33], v[36:37], v[32:33]
	s_delay_alu instid0(VALU_DEP_2) | instskip(NEXT) | instid1(VALU_DEP_2)
	v_fma_f64 v[34:35], -v[22:23], v[30:31], 1.0
	v_fma_f64 v[36:37], -v[28:29], v[32:33], 1.0
	s_delay_alu instid0(VALU_DEP_2) | instskip(SKIP_1) | instid1(VALU_DEP_3)
	v_fma_f64 v[30:31], v[30:31], v[34:35], v[30:31]
	v_div_scale_f64 v[34:35], s0, v[24:25], v[16:17], v[24:25]
	v_fma_f64 v[32:33], v[32:33], v[36:37], v[32:33]
	s_delay_alu instid0(VALU_DEP_3) | instskip(NEXT) | instid1(VALU_DEP_2)
	v_mul_f64 v[36:37], v[38:39], v[30:31]
	v_mul_f64 v[40:41], v[34:35], v[32:33]
	s_delay_alu instid0(VALU_DEP_2) | instskip(NEXT) | instid1(VALU_DEP_2)
	v_fma_f64 v[22:23], -v[22:23], v[36:37], v[38:39]
	v_fma_f64 v[28:29], -v[28:29], v[40:41], v[34:35]
	s_delay_alu instid0(VALU_DEP_2) | instskip(SKIP_1) | instid1(VALU_DEP_2)
	v_div_fmas_f64 v[22:23], v[22:23], v[30:31], v[36:37]
	s_mov_b32 vcc_lo, s0
	v_div_fmas_f64 v[28:29], v[28:29], v[32:33], v[40:41]
	s_delay_alu instid0(VALU_DEP_2) | instskip(NEXT) | instid1(VALU_DEP_2)
	v_div_fixup_f64 v[3:4], v[22:23], v[10:11], v[3:4]
	v_div_fixup_f64 v[16:17], v[28:29], v[16:17], v[24:25]
	s_delay_alu instid0(VALU_DEP_2)
	v_fma_f64 v[7:8], -v[3:4], v[18:19], v[7:8]
	s_waitcnt lgkmcnt(0)
	v_fma_f64 v[18:19], -v[3:4], v[12:13], v[26:27]
	ds_load_2addr_stride64_b64 v[10:13], v42 offset0:8 offset1:16
	v_mul_f64 v[3:4], v[3:4], -v[20:21]
	s_waitcnt lgkmcnt(0)
	s_barrier
	buffer_gl0_inv
	v_mul_f64 v[10:11], v[16:17], -v[10:11]
	v_fma_f64 v[7:8], -v[16:17], v[12:13], v[7:8]
	v_fma_f64 v[12:13], -v[16:17], v[14:15], v[18:19]
	v_max_u32_e32 v14, 8, v0
	v_add_nc_u32_e32 v16, 8, v0
	ds_store_b64 v9, v[7:8] offset:8192
	ds_store_b64 v9, v[3:4]
	ds_store_b64 v5, v[12:13]
	;; [unrolled: 1-line block ×3, first 2 shown]
	v_lshlrev_b32_e32 v14, 3, v14
	s_waitcnt lgkmcnt(0)
	s_barrier
	buffer_gl0_inv
	v_cmp_gt_i32_e32 vcc_lo, s3, v16
	v_add_nc_u32_e32 v15, 0x1c0, v14
	ds_load_2addr_stride64_b64 v[10:13], v15 offset0:3 offset1:7
	ds_load_b64 v[3:4], v9
	v_subrev_nc_u32_e32 v15, 64, v14
	ds_load_b64 v[7:8], v9 offset:8192
	ds_load_b64 v[18:19], v14 offset:8128
	ds_load_b64 v[20:21], v15
	v_cndmask_b32_e32 v14, s1, v16, vcc_lo
	s_delay_alu instid0(VALU_DEP_1)
	v_lshlrev_b32_e32 v42, 3, v14
	ds_load_2addr_stride64_b64 v[14:17], v42 offset1:4
	ds_load_b64 v[24:25], v6
	ds_load_b64 v[26:27], v5
	s_waitcnt lgkmcnt(6)
	v_div_scale_f64 v[22:23], null, v[10:11], v[10:11], v[3:4]
	v_div_scale_f64 v[38:39], vcc_lo, v[3:4], v[10:11], v[3:4]
	s_waitcnt lgkmcnt(1)
	v_div_scale_f64 v[28:29], null, v[16:17], v[16:17], v[24:25]
	s_delay_alu instid0(VALU_DEP_3) | instskip(NEXT) | instid1(VALU_DEP_1)
	v_rcp_f64_e32 v[30:31], v[22:23]
	v_rcp_f64_e32 v[32:33], v[28:29]
	s_waitcnt_depctr 0xfff
	v_fma_f64 v[34:35], -v[22:23], v[30:31], 1.0
	v_fma_f64 v[36:37], -v[28:29], v[32:33], 1.0
	s_delay_alu instid0(VALU_DEP_2) | instskip(NEXT) | instid1(VALU_DEP_2)
	v_fma_f64 v[30:31], v[30:31], v[34:35], v[30:31]
	v_fma_f64 v[32:33], v[32:33], v[36:37], v[32:33]
	s_delay_alu instid0(VALU_DEP_2) | instskip(NEXT) | instid1(VALU_DEP_2)
	v_fma_f64 v[34:35], -v[22:23], v[30:31], 1.0
	v_fma_f64 v[36:37], -v[28:29], v[32:33], 1.0
	s_delay_alu instid0(VALU_DEP_2) | instskip(SKIP_1) | instid1(VALU_DEP_3)
	v_fma_f64 v[30:31], v[30:31], v[34:35], v[30:31]
	v_div_scale_f64 v[34:35], s0, v[24:25], v[16:17], v[24:25]
	v_fma_f64 v[32:33], v[32:33], v[36:37], v[32:33]
	s_delay_alu instid0(VALU_DEP_3) | instskip(NEXT) | instid1(VALU_DEP_2)
	v_mul_f64 v[36:37], v[38:39], v[30:31]
	v_mul_f64 v[40:41], v[34:35], v[32:33]
	s_delay_alu instid0(VALU_DEP_2) | instskip(NEXT) | instid1(VALU_DEP_2)
	v_fma_f64 v[22:23], -v[22:23], v[36:37], v[38:39]
	v_fma_f64 v[28:29], -v[28:29], v[40:41], v[34:35]
	s_delay_alu instid0(VALU_DEP_2) | instskip(SKIP_1) | instid1(VALU_DEP_2)
	v_div_fmas_f64 v[22:23], v[22:23], v[30:31], v[36:37]
	s_mov_b32 vcc_lo, s0
	v_div_fmas_f64 v[28:29], v[28:29], v[32:33], v[40:41]
	s_delay_alu instid0(VALU_DEP_2) | instskip(NEXT) | instid1(VALU_DEP_2)
	v_div_fixup_f64 v[3:4], v[22:23], v[10:11], v[3:4]
	v_div_fixup_f64 v[16:17], v[28:29], v[16:17], v[24:25]
	s_delay_alu instid0(VALU_DEP_2)
	v_fma_f64 v[7:8], -v[3:4], v[18:19], v[7:8]
	s_waitcnt lgkmcnt(0)
	v_fma_f64 v[18:19], -v[3:4], v[12:13], v[26:27]
	ds_load_2addr_stride64_b64 v[10:13], v42 offset0:8 offset1:16
	v_mul_f64 v[3:4], v[3:4], -v[20:21]
	s_waitcnt lgkmcnt(0)
	s_barrier
	buffer_gl0_inv
	v_mul_f64 v[10:11], v[16:17], -v[10:11]
	v_fma_f64 v[7:8], -v[16:17], v[12:13], v[7:8]
	v_fma_f64 v[12:13], -v[16:17], v[14:15], v[18:19]
	v_max_u32_e32 v14, 16, v0
	v_add_nc_u32_e32 v16, 16, v0
	ds_store_b64 v9, v[7:8] offset:8192
	ds_store_b64 v9, v[3:4]
	ds_store_b64 v5, v[12:13]
	;; [unrolled: 1-line block ×3, first 2 shown]
	v_lshlrev_b32_e32 v14, 3, v14
	s_waitcnt lgkmcnt(0)
	s_barrier
	buffer_gl0_inv
	v_cmp_gt_i32_e32 vcc_lo, s3, v16
	v_add_nc_u32_e32 v15, 0x180, v14
	ds_load_2addr_stride64_b64 v[10:13], v15 offset0:3 offset1:7
	ds_load_b64 v[3:4], v9
	v_add_nc_u32_e32 v15, 0xffffff80, v14
	ds_load_b64 v[7:8], v9 offset:8192
	ds_load_b64 v[18:19], v14 offset:8064
	ds_load_b64 v[20:21], v15
	v_cndmask_b32_e32 v14, s1, v16, vcc_lo
	s_delay_alu instid0(VALU_DEP_1)
	v_lshlrev_b32_e32 v42, 3, v14
	ds_load_2addr_stride64_b64 v[14:17], v42 offset1:4
	ds_load_b64 v[24:25], v6
	ds_load_b64 v[26:27], v5
	s_waitcnt lgkmcnt(6)
	v_div_scale_f64 v[22:23], null, v[10:11], v[10:11], v[3:4]
	v_div_scale_f64 v[38:39], vcc_lo, v[3:4], v[10:11], v[3:4]
	s_waitcnt lgkmcnt(1)
	v_div_scale_f64 v[28:29], null, v[16:17], v[16:17], v[24:25]
	s_delay_alu instid0(VALU_DEP_3) | instskip(NEXT) | instid1(VALU_DEP_1)
	v_rcp_f64_e32 v[30:31], v[22:23]
	v_rcp_f64_e32 v[32:33], v[28:29]
	s_waitcnt_depctr 0xfff
	v_fma_f64 v[34:35], -v[22:23], v[30:31], 1.0
	v_fma_f64 v[36:37], -v[28:29], v[32:33], 1.0
	s_delay_alu instid0(VALU_DEP_2) | instskip(NEXT) | instid1(VALU_DEP_2)
	v_fma_f64 v[30:31], v[30:31], v[34:35], v[30:31]
	v_fma_f64 v[32:33], v[32:33], v[36:37], v[32:33]
	s_delay_alu instid0(VALU_DEP_2) | instskip(NEXT) | instid1(VALU_DEP_2)
	v_fma_f64 v[34:35], -v[22:23], v[30:31], 1.0
	v_fma_f64 v[36:37], -v[28:29], v[32:33], 1.0
	s_delay_alu instid0(VALU_DEP_2) | instskip(SKIP_1) | instid1(VALU_DEP_3)
	v_fma_f64 v[30:31], v[30:31], v[34:35], v[30:31]
	v_div_scale_f64 v[34:35], s0, v[24:25], v[16:17], v[24:25]
	v_fma_f64 v[32:33], v[32:33], v[36:37], v[32:33]
	s_delay_alu instid0(VALU_DEP_3) | instskip(NEXT) | instid1(VALU_DEP_2)
	v_mul_f64 v[36:37], v[38:39], v[30:31]
	v_mul_f64 v[40:41], v[34:35], v[32:33]
	s_delay_alu instid0(VALU_DEP_2) | instskip(NEXT) | instid1(VALU_DEP_2)
	v_fma_f64 v[22:23], -v[22:23], v[36:37], v[38:39]
	v_fma_f64 v[28:29], -v[28:29], v[40:41], v[34:35]
	s_delay_alu instid0(VALU_DEP_2) | instskip(SKIP_1) | instid1(VALU_DEP_2)
	v_div_fmas_f64 v[22:23], v[22:23], v[30:31], v[36:37]
	s_mov_b32 vcc_lo, s0
	v_div_fmas_f64 v[28:29], v[28:29], v[32:33], v[40:41]
	s_delay_alu instid0(VALU_DEP_2) | instskip(NEXT) | instid1(VALU_DEP_2)
	v_div_fixup_f64 v[3:4], v[22:23], v[10:11], v[3:4]
	v_div_fixup_f64 v[16:17], v[28:29], v[16:17], v[24:25]
	s_delay_alu instid0(VALU_DEP_2)
	v_fma_f64 v[7:8], -v[3:4], v[18:19], v[7:8]
	s_waitcnt lgkmcnt(0)
	v_fma_f64 v[18:19], -v[3:4], v[12:13], v[26:27]
	ds_load_2addr_stride64_b64 v[10:13], v42 offset0:8 offset1:16
	v_mul_f64 v[3:4], v[3:4], -v[20:21]
	s_waitcnt lgkmcnt(0)
	s_barrier
	buffer_gl0_inv
	v_mul_f64 v[10:11], v[16:17], -v[10:11]
	v_fma_f64 v[7:8], -v[16:17], v[12:13], v[7:8]
	v_fma_f64 v[12:13], -v[16:17], v[14:15], v[18:19]
	v_max_u32_e32 v14, 32, v0
	ds_store_b64 v9, v[7:8] offset:8192
	ds_store_b64 v9, v[3:4]
	ds_store_b64 v5, v[12:13]
	;; [unrolled: 1-line block ×3, first 2 shown]
	v_lshlrev_b32_e32 v14, 3, v14
	s_waitcnt lgkmcnt(0)
	s_barrier
	buffer_gl0_inv
	v_add_nc_u32_e32 v16, 32, v0
	v_add_nc_u32_e32 v15, 0x100, v14
	ds_load_2addr_stride64_b64 v[10:13], v15 offset0:3 offset1:7
	ds_load_b64 v[3:4], v9
	v_cmp_gt_i32_e32 vcc_lo, s3, v16
	v_add_nc_u32_e32 v15, 0xffffff00, v14
	ds_load_b64 v[7:8], v9 offset:8192
	ds_load_b64 v[18:19], v14 offset:7936
	ds_load_b64 v[20:21], v15
	v_cndmask_b32_e32 v14, s1, v16, vcc_lo
	s_delay_alu instid0(VALU_DEP_1)
	v_lshlrev_b32_e32 v42, 3, v14
	ds_load_2addr_stride64_b64 v[14:17], v42 offset1:4
	ds_load_b64 v[24:25], v6
	ds_load_b64 v[26:27], v5
	s_waitcnt lgkmcnt(6)
	v_div_scale_f64 v[22:23], null, v[10:11], v[10:11], v[3:4]
	v_div_scale_f64 v[38:39], vcc_lo, v[3:4], v[10:11], v[3:4]
	s_waitcnt lgkmcnt(1)
	v_div_scale_f64 v[28:29], null, v[16:17], v[16:17], v[24:25]
	s_delay_alu instid0(VALU_DEP_3) | instskip(NEXT) | instid1(VALU_DEP_1)
	v_rcp_f64_e32 v[30:31], v[22:23]
	v_rcp_f64_e32 v[32:33], v[28:29]
	s_waitcnt_depctr 0xfff
	v_fma_f64 v[34:35], -v[22:23], v[30:31], 1.0
	v_fma_f64 v[36:37], -v[28:29], v[32:33], 1.0
	s_delay_alu instid0(VALU_DEP_2) | instskip(NEXT) | instid1(VALU_DEP_2)
	v_fma_f64 v[30:31], v[30:31], v[34:35], v[30:31]
	v_fma_f64 v[32:33], v[32:33], v[36:37], v[32:33]
	s_delay_alu instid0(VALU_DEP_2) | instskip(NEXT) | instid1(VALU_DEP_2)
	v_fma_f64 v[34:35], -v[22:23], v[30:31], 1.0
	v_fma_f64 v[36:37], -v[28:29], v[32:33], 1.0
	s_delay_alu instid0(VALU_DEP_2) | instskip(SKIP_1) | instid1(VALU_DEP_3)
	v_fma_f64 v[30:31], v[30:31], v[34:35], v[30:31]
	v_div_scale_f64 v[34:35], s0, v[24:25], v[16:17], v[24:25]
	v_fma_f64 v[32:33], v[32:33], v[36:37], v[32:33]
	s_delay_alu instid0(VALU_DEP_3) | instskip(NEXT) | instid1(VALU_DEP_2)
	v_mul_f64 v[36:37], v[38:39], v[30:31]
	v_mul_f64 v[40:41], v[34:35], v[32:33]
	s_delay_alu instid0(VALU_DEP_2) | instskip(NEXT) | instid1(VALU_DEP_2)
	v_fma_f64 v[22:23], -v[22:23], v[36:37], v[38:39]
	v_fma_f64 v[28:29], -v[28:29], v[40:41], v[34:35]
	s_delay_alu instid0(VALU_DEP_2) | instskip(SKIP_1) | instid1(VALU_DEP_2)
	v_div_fmas_f64 v[22:23], v[22:23], v[30:31], v[36:37]
	s_mov_b32 vcc_lo, s0
	v_div_fmas_f64 v[28:29], v[28:29], v[32:33], v[40:41]
	s_delay_alu instid0(VALU_DEP_2) | instskip(NEXT) | instid1(VALU_DEP_2)
	v_div_fixup_f64 v[3:4], v[22:23], v[10:11], v[3:4]
	v_div_fixup_f64 v[16:17], v[28:29], v[16:17], v[24:25]
	s_delay_alu instid0(VALU_DEP_2)
	v_fma_f64 v[7:8], -v[3:4], v[18:19], v[7:8]
	s_waitcnt lgkmcnt(0)
	v_fma_f64 v[18:19], -v[3:4], v[12:13], v[26:27]
	ds_load_2addr_stride64_b64 v[10:13], v42 offset0:8 offset1:16
	v_mul_f64 v[3:4], v[3:4], -v[20:21]
	s_waitcnt lgkmcnt(0)
	s_barrier
	buffer_gl0_inv
	v_mul_f64 v[10:11], v[16:17], -v[10:11]
	v_fma_f64 v[7:8], -v[16:17], v[12:13], v[7:8]
	v_fma_f64 v[12:13], -v[16:17], v[14:15], v[18:19]
	v_max_u32_e32 v14, 64, v0
	ds_store_b64 v9, v[7:8] offset:8192
	ds_store_b64 v9, v[3:4]
	ds_store_b64 v5, v[12:13]
	;; [unrolled: 1-line block ×3, first 2 shown]
	v_lshlrev_b32_e32 v14, 3, v14
	s_waitcnt lgkmcnt(0)
	s_barrier
	buffer_gl0_inv
	ds_load_2addr_stride64_b64 v[10:13], v14 offset0:3 offset1:7
	ds_load_b64 v[3:4], v9
	v_add_nc_u32_e32 v16, 64, v0
	v_add_nc_u32_e32 v15, 0xfffffe00, v14
	ds_load_b64 v[7:8], v9 offset:8192
	ds_load_b64 v[18:19], v14 offset:7680
	ds_load_b64 v[20:21], v15
	v_cmp_gt_i32_e32 vcc_lo, s3, v16
	v_cndmask_b32_e32 v14, s1, v16, vcc_lo
	s_delay_alu instid0(VALU_DEP_1)
	v_lshlrev_b32_e32 v42, 3, v14
	ds_load_2addr_stride64_b64 v[14:17], v42 offset1:4
	ds_load_b64 v[24:25], v6
	ds_load_b64 v[26:27], v5
	s_waitcnt lgkmcnt(6)
	v_div_scale_f64 v[22:23], null, v[10:11], v[10:11], v[3:4]
	v_div_scale_f64 v[38:39], vcc_lo, v[3:4], v[10:11], v[3:4]
	s_waitcnt lgkmcnt(1)
	v_div_scale_f64 v[28:29], null, v[16:17], v[16:17], v[24:25]
	s_delay_alu instid0(VALU_DEP_3) | instskip(NEXT) | instid1(VALU_DEP_1)
	v_rcp_f64_e32 v[30:31], v[22:23]
	v_rcp_f64_e32 v[32:33], v[28:29]
	s_waitcnt_depctr 0xfff
	v_fma_f64 v[34:35], -v[22:23], v[30:31], 1.0
	v_fma_f64 v[36:37], -v[28:29], v[32:33], 1.0
	s_delay_alu instid0(VALU_DEP_2) | instskip(NEXT) | instid1(VALU_DEP_2)
	v_fma_f64 v[30:31], v[30:31], v[34:35], v[30:31]
	v_fma_f64 v[32:33], v[32:33], v[36:37], v[32:33]
	s_delay_alu instid0(VALU_DEP_2) | instskip(NEXT) | instid1(VALU_DEP_2)
	v_fma_f64 v[34:35], -v[22:23], v[30:31], 1.0
	v_fma_f64 v[36:37], -v[28:29], v[32:33], 1.0
	s_delay_alu instid0(VALU_DEP_2) | instskip(SKIP_1) | instid1(VALU_DEP_3)
	v_fma_f64 v[30:31], v[30:31], v[34:35], v[30:31]
	v_div_scale_f64 v[34:35], s0, v[24:25], v[16:17], v[24:25]
	v_fma_f64 v[32:33], v[32:33], v[36:37], v[32:33]
	s_delay_alu instid0(VALU_DEP_3) | instskip(NEXT) | instid1(VALU_DEP_2)
	v_mul_f64 v[36:37], v[38:39], v[30:31]
	v_mul_f64 v[40:41], v[34:35], v[32:33]
	s_delay_alu instid0(VALU_DEP_2) | instskip(NEXT) | instid1(VALU_DEP_2)
	v_fma_f64 v[22:23], -v[22:23], v[36:37], v[38:39]
	v_fma_f64 v[28:29], -v[28:29], v[40:41], v[34:35]
	s_delay_alu instid0(VALU_DEP_2) | instskip(SKIP_2) | instid1(VALU_DEP_2)
	v_div_fmas_f64 v[22:23], v[22:23], v[30:31], v[36:37]
	s_mov_b32 vcc_lo, s0
	s_mov_b32 s0, exec_lo
	v_div_fmas_f64 v[28:29], v[28:29], v[32:33], v[40:41]
	s_delay_alu instid0(VALU_DEP_2) | instskip(NEXT) | instid1(VALU_DEP_2)
	v_div_fixup_f64 v[3:4], v[22:23], v[10:11], v[3:4]
	v_div_fixup_f64 v[16:17], v[28:29], v[16:17], v[24:25]
	s_delay_alu instid0(VALU_DEP_2)
	v_fma_f64 v[7:8], -v[3:4], v[18:19], v[7:8]
	s_waitcnt lgkmcnt(0)
	v_fma_f64 v[18:19], -v[3:4], v[12:13], v[26:27]
	ds_load_2addr_stride64_b64 v[10:13], v42 offset0:8 offset1:16
	v_mul_f64 v[3:4], v[3:4], -v[20:21]
	s_waitcnt lgkmcnt(0)
	s_barrier
	buffer_gl0_inv
	v_mul_f64 v[10:11], v[16:17], -v[10:11]
	v_fma_f64 v[7:8], -v[16:17], v[12:13], v[7:8]
	v_fma_f64 v[12:13], -v[16:17], v[14:15], v[18:19]
	ds_store_b64 v9, v[7:8] offset:8192
	ds_store_b64 v9, v[3:4]
	ds_store_b64 v5, v[12:13]
	;; [unrolled: 1-line block ×3, first 2 shown]
	s_waitcnt lgkmcnt(0)
	s_barrier
	buffer_gl0_inv
	v_cmpx_gt_u32_e32 0x80, v0
	s_cbranch_execz .LBB36_14
; %bb.9:
	v_or_b32_e32 v7, 0x80, v0
	v_or_b32_e32 v8, 0x2000, v9
	s_mov_b32 s1, exec_lo
                                        ; implicit-def: $vgpr3_vgpr4
	s_delay_alu instid0(VALU_DEP_2)
	v_cmpx_le_i32_e64 s3, v7
	s_xor_b32 s1, exec_lo, s1
	s_cbranch_execz .LBB36_11
; %bb.10:
	ds_load_b64 v[3:4], v8
	ds_load_b64 v[5:6], v5
	s_waitcnt lgkmcnt(0)
	v_div_scale_f64 v[7:8], null, v[5:6], v[5:6], v[3:4]
	s_delay_alu instid0(VALU_DEP_1) | instskip(SKIP_2) | instid1(VALU_DEP_1)
	v_rcp_f64_e32 v[10:11], v[7:8]
	s_waitcnt_depctr 0xfff
	v_fma_f64 v[12:13], -v[7:8], v[10:11], 1.0
	v_fma_f64 v[10:11], v[10:11], v[12:13], v[10:11]
	s_delay_alu instid0(VALU_DEP_1) | instskip(NEXT) | instid1(VALU_DEP_1)
	v_fma_f64 v[12:13], -v[7:8], v[10:11], 1.0
	v_fma_f64 v[10:11], v[10:11], v[12:13], v[10:11]
	v_div_scale_f64 v[12:13], vcc_lo, v[3:4], v[5:6], v[3:4]
	s_delay_alu instid0(VALU_DEP_1) | instskip(NEXT) | instid1(VALU_DEP_1)
	v_mul_f64 v[14:15], v[12:13], v[10:11]
	v_fma_f64 v[7:8], -v[7:8], v[14:15], v[12:13]
	s_delay_alu instid0(VALU_DEP_1) | instskip(NEXT) | instid1(VALU_DEP_1)
	v_div_fmas_f64 v[7:8], v[7:8], v[10:11], v[14:15]
	v_div_fixup_f64 v[3:4], v[7:8], v[5:6], v[3:4]
                                        ; implicit-def: $vgpr5
                                        ; implicit-def: $vgpr6
                                        ; implicit-def: $vgpr8
                                        ; implicit-def: $vgpr7
.LBB36_11:
	s_and_not1_saveexec_b32 s1, s1
	s_cbranch_execz .LBB36_13
; %bb.12:
	ds_load_b64 v[14:15], v6
	ds_load_b64 v[16:17], v9 offset:1024
	ds_load_2addr_stride64_b64 v[3:6], v5 offset1:2
	v_mov_b32_e32 v0, v7
	s_waitcnt lgkmcnt(1)
	v_mul_f64 v[10:11], v[14:15], v[16:17]
	s_waitcnt lgkmcnt(0)
	s_delay_alu instid0(VALU_DEP_1) | instskip(NEXT) | instid1(VALU_DEP_1)
	v_fma_f64 v[18:19], v[5:6], v[3:4], -v[10:11]
	v_div_scale_f64 v[10:11], null, v[18:19], v[18:19], 1.0
	v_div_scale_f64 v[22:23], vcc_lo, 1.0, v[18:19], 1.0
	s_delay_alu instid0(VALU_DEP_2) | instskip(SKIP_2) | instid1(VALU_DEP_1)
	v_rcp_f64_e32 v[12:13], v[10:11]
	s_waitcnt_depctr 0xfff
	v_fma_f64 v[20:21], -v[10:11], v[12:13], 1.0
	v_fma_f64 v[12:13], v[12:13], v[20:21], v[12:13]
	s_delay_alu instid0(VALU_DEP_1) | instskip(NEXT) | instid1(VALU_DEP_1)
	v_fma_f64 v[20:21], -v[10:11], v[12:13], 1.0
	v_fma_f64 v[20:21], v[12:13], v[20:21], v[12:13]
	s_delay_alu instid0(VALU_DEP_1) | instskip(NEXT) | instid1(VALU_DEP_1)
	v_mul_f64 v[24:25], v[22:23], v[20:21]
	v_fma_f64 v[22:23], -v[10:11], v[24:25], v[22:23]
	ds_load_2addr_stride64_b64 v[10:13], v8 offset1:2
	s_waitcnt lgkmcnt(0)
	v_mul_f64 v[14:15], v[14:15], v[12:13]
	v_mul_f64 v[16:17], v[16:17], v[10:11]
	v_div_fmas_f64 v[20:21], v[22:23], v[20:21], v[24:25]
	s_delay_alu instid0(VALU_DEP_3) | instskip(NEXT) | instid1(VALU_DEP_3)
	v_fma_f64 v[5:6], v[5:6], v[10:11], -v[14:15]
	v_fma_f64 v[3:4], v[3:4], v[12:13], -v[16:17]
	s_delay_alu instid0(VALU_DEP_3) | instskip(NEXT) | instid1(VALU_DEP_1)
	v_div_fixup_f64 v[18:19], v[20:21], v[18:19], 1.0
	v_mul_f64 v[5:6], v[18:19], v[5:6]
	s_delay_alu instid0(VALU_DEP_3)
	v_mul_f64 v[3:4], v[18:19], v[3:4]
	ds_store_b64 v9, v[5:6] offset:6144
.LBB36_13:
	s_or_b32 exec_lo, exec_lo, s1
	v_lshlrev_b32_e32 v0, 3, v0
	ds_store_b64 v0, v[3:4] offset:6144
.LBB36_14:
	s_or_b32 exec_lo, exec_lo, s0
	s_waitcnt lgkmcnt(0)
	s_barrier
	buffer_gl0_inv
	s_and_saveexec_b32 s0, s2
	s_cbranch_execz .LBB36_16
; %bb.15:
	ds_load_b64 v[3:4], v9 offset:6144
	v_lshlrev_b64 v[0:1], 3, v[1:2]
	s_delay_alu instid0(VALU_DEP_1) | instskip(NEXT) | instid1(VALU_DEP_2)
	v_add_co_u32 v0, vcc_lo, s4, v0
	v_add_co_ci_u32_e32 v1, vcc_lo, s5, v1, vcc_lo
	s_waitcnt lgkmcnt(0)
	global_store_b64 v[0:1], v[3:4], off
.LBB36_16:
	s_nop 0
	s_sendmsg sendmsg(MSG_DEALLOC_VGPRS)
	s_endpgm
	.section	.rodata,"a",@progbits
	.p2align	6, 0x0
	.amdhsa_kernel _ZN9rocsparseL44gtsv_nopivot_strided_batch_pcr_shared_kernelILj256EdEEviiiPKT0_S3_S3_PS1_
		.amdhsa_group_segment_fixed_size 10240
		.amdhsa_private_segment_fixed_size 0
		.amdhsa_kernarg_size 48
		.amdhsa_user_sgpr_count 15
		.amdhsa_user_sgpr_dispatch_ptr 0
		.amdhsa_user_sgpr_queue_ptr 0
		.amdhsa_user_sgpr_kernarg_segment_ptr 1
		.amdhsa_user_sgpr_dispatch_id 0
		.amdhsa_user_sgpr_private_segment_size 0
		.amdhsa_wavefront_size32 1
		.amdhsa_uses_dynamic_stack 0
		.amdhsa_enable_private_segment 0
		.amdhsa_system_sgpr_workgroup_id_x 1
		.amdhsa_system_sgpr_workgroup_id_y 0
		.amdhsa_system_sgpr_workgroup_id_z 0
		.amdhsa_system_sgpr_workgroup_info 0
		.amdhsa_system_vgpr_workitem_id 0
		.amdhsa_next_free_vgpr 43
		.amdhsa_next_free_sgpr 16
		.amdhsa_reserve_vcc 1
		.amdhsa_float_round_mode_32 0
		.amdhsa_float_round_mode_16_64 0
		.amdhsa_float_denorm_mode_32 3
		.amdhsa_float_denorm_mode_16_64 3
		.amdhsa_dx10_clamp 1
		.amdhsa_ieee_mode 1
		.amdhsa_fp16_overflow 0
		.amdhsa_workgroup_processor_mode 1
		.amdhsa_memory_ordered 1
		.amdhsa_forward_progress 0
		.amdhsa_shared_vgpr_count 0
		.amdhsa_exception_fp_ieee_invalid_op 0
		.amdhsa_exception_fp_denorm_src 0
		.amdhsa_exception_fp_ieee_div_zero 0
		.amdhsa_exception_fp_ieee_overflow 0
		.amdhsa_exception_fp_ieee_underflow 0
		.amdhsa_exception_fp_ieee_inexact 0
		.amdhsa_exception_int_div_zero 0
	.end_amdhsa_kernel
	.section	.text._ZN9rocsparseL44gtsv_nopivot_strided_batch_pcr_shared_kernelILj256EdEEviiiPKT0_S3_S3_PS1_,"axG",@progbits,_ZN9rocsparseL44gtsv_nopivot_strided_batch_pcr_shared_kernelILj256EdEEviiiPKT0_S3_S3_PS1_,comdat
.Lfunc_end36:
	.size	_ZN9rocsparseL44gtsv_nopivot_strided_batch_pcr_shared_kernelILj256EdEEviiiPKT0_S3_S3_PS1_, .Lfunc_end36-_ZN9rocsparseL44gtsv_nopivot_strided_batch_pcr_shared_kernelILj256EdEEviiiPKT0_S3_S3_PS1_
                                        ; -- End function
	.section	.AMDGPU.csdata,"",@progbits
; Kernel info:
; codeLenInByte = 4068
; NumSgprs: 18
; NumVgprs: 43
; ScratchSize: 0
; MemoryBound: 0
; FloatMode: 240
; IeeeMode: 1
; LDSByteSize: 10240 bytes/workgroup (compile time only)
; SGPRBlocks: 2
; VGPRBlocks: 5
; NumSGPRsForWavesPerEU: 18
; NumVGPRsForWavesPerEU: 43
; Occupancy: 16
; WaveLimiterHint : 0
; COMPUTE_PGM_RSRC2:SCRATCH_EN: 0
; COMPUTE_PGM_RSRC2:USER_SGPR: 15
; COMPUTE_PGM_RSRC2:TRAP_HANDLER: 0
; COMPUTE_PGM_RSRC2:TGID_X_EN: 1
; COMPUTE_PGM_RSRC2:TGID_Y_EN: 0
; COMPUTE_PGM_RSRC2:TGID_Z_EN: 0
; COMPUTE_PGM_RSRC2:TIDIG_COMP_CNT: 0
	.section	.text._ZN9rocsparseL44gtsv_nopivot_strided_batch_pcr_shared_kernelILj512EdEEviiiPKT0_S3_S3_PS1_,"axG",@progbits,_ZN9rocsparseL44gtsv_nopivot_strided_batch_pcr_shared_kernelILj512EdEEviiiPKT0_S3_S3_PS1_,comdat
	.globl	_ZN9rocsparseL44gtsv_nopivot_strided_batch_pcr_shared_kernelILj512EdEEviiiPKT0_S3_S3_PS1_ ; -- Begin function _ZN9rocsparseL44gtsv_nopivot_strided_batch_pcr_shared_kernelILj512EdEEviiiPKT0_S3_S3_PS1_
	.p2align	8
	.type	_ZN9rocsparseL44gtsv_nopivot_strided_batch_pcr_shared_kernelILj512EdEEviiiPKT0_S3_S3_PS1_,@function
_ZN9rocsparseL44gtsv_nopivot_strided_batch_pcr_shared_kernelILj512EdEEviiiPKT0_S3_S3_PS1_: ; @_ZN9rocsparseL44gtsv_nopivot_strided_batch_pcr_shared_kernelILj512EdEEviiiPKT0_S3_S3_PS1_
; %bb.0:
	s_clause 0x1
	s_load_b32 s2, s[0:1], 0x8
	s_load_b32 s3, s[0:1], 0x0
	v_mov_b32_e32 v5, 0
	v_mov_b32_e32 v6, 0
	s_delay_alu instid0(VALU_DEP_1) | instskip(SKIP_3) | instid1(VALU_DEP_2)
	v_dual_mov_b32 v3, v5 :: v_dual_mov_b32 v4, v6
	s_waitcnt lgkmcnt(0)
	v_mad_u64_u32 v[1:2], null, s15, s2, v[0:1]
	v_cmp_gt_i32_e64 s2, s3, v0
	v_ashrrev_i32_e32 v2, 31, v1
	s_delay_alu instid0(VALU_DEP_2)
	s_and_saveexec_b32 s4, s2
	s_cbranch_execz .LBB37_2
; %bb.1:
	s_load_b64 s[6:7], s[0:1], 0x10
	s_delay_alu instid0(VALU_DEP_1) | instskip(SKIP_1) | instid1(VALU_DEP_1)
	v_lshlrev_b64 v[3:4], 3, v[1:2]
	s_waitcnt lgkmcnt(0)
	v_add_co_u32 v3, vcc_lo, s6, v3
	s_delay_alu instid0(VALU_DEP_2)
	v_add_co_ci_u32_e32 v4, vcc_lo, s7, v4, vcc_lo
	global_load_b64 v[3:4], v[3:4], off
.LBB37_2:
	s_or_b32 exec_lo, exec_lo, s4
	v_lshlrev_b32_e32 v9, 3, v0
	s_waitcnt vmcnt(0)
	ds_store_b64 v9, v[3:4]
	s_and_saveexec_b32 s4, s2
	s_cbranch_execz .LBB37_4
; %bb.3:
	s_load_b64 s[6:7], s[0:1], 0x18
	v_lshlrev_b64 v[3:4], 3, v[1:2]
	s_waitcnt lgkmcnt(0)
	s_delay_alu instid0(VALU_DEP_1) | instskip(NEXT) | instid1(VALU_DEP_2)
	v_add_co_u32 v3, vcc_lo, s6, v3
	v_add_co_ci_u32_e32 v4, vcc_lo, s7, v4, vcc_lo
	global_load_b64 v[5:6], v[3:4], off
.LBB37_4:
	s_or_b32 exec_lo, exec_lo, s4
	s_load_b64 s[4:5], s[0:1], 0x28
	v_mov_b32_e32 v3, 0
	v_mov_b32_e32 v4, 0
	s_waitcnt vmcnt(0)
	ds_store_b64 v9, v[5:6] offset:4096
	v_dual_mov_b32 v8, v4 :: v_dual_mov_b32 v7, v3
	s_and_saveexec_b32 s6, s2
	s_cbranch_execz .LBB37_6
; %bb.5:
	s_load_b64 s[0:1], s[0:1], 0x20
	v_lshlrev_b64 v[5:6], 3, v[1:2]
	s_waitcnt lgkmcnt(0)
	s_delay_alu instid0(VALU_DEP_1) | instskip(NEXT) | instid1(VALU_DEP_2)
	v_add_co_u32 v5, vcc_lo, s0, v5
	v_add_co_ci_u32_e32 v6, vcc_lo, s1, v6, vcc_lo
	global_load_b64 v[7:8], v[5:6], off
.LBB37_6:
	s_or_b32 exec_lo, exec_lo, s6
	v_or_b32_e32 v5, 0x1000, v9
	v_or_b32_e32 v6, 0x2000, v9
	s_waitcnt vmcnt(0)
	ds_store_b64 v9, v[7:8] offset:8192
	s_and_saveexec_b32 s0, s2
	s_cbranch_execz .LBB37_8
; %bb.7:
	v_lshlrev_b64 v[3:4], 3, v[1:2]
	s_waitcnt lgkmcnt(0)
	s_delay_alu instid0(VALU_DEP_1) | instskip(NEXT) | instid1(VALU_DEP_2)
	v_add_co_u32 v3, vcc_lo, s4, v3
	v_add_co_ci_u32_e32 v4, vcc_lo, s5, v4, vcc_lo
	global_load_b64 v[3:4], v[3:4], off
.LBB37_8:
	s_or_b32 exec_lo, exec_lo, s0
	v_max_u32_e32 v7, 1, v0
	s_waitcnt vmcnt(0)
	ds_store_b64 v9, v[3:4] offset:16384
	s_waitcnt lgkmcnt(0)
	s_barrier
	buffer_gl0_inv
	v_lshlrev_b32_e32 v14, 3, v7
	v_add_nc_u32_e32 v16, 1, v0
	s_add_i32 s1, s3, -1
	s_delay_alu instid0(VALU_DEP_2) | instskip(NEXT) | instid1(VALU_DEP_2)
	v_add_nc_u32_e32 v7, 0x1f8, v14
	v_cmp_gt_i32_e32 vcc_lo, s3, v16
	v_add_nc_u32_e32 v15, -8, v14
	ds_load_2addr_stride64_b64 v[10:13], v7 offset0:7 offset1:15
	ds_load_b64 v[3:4], v9
	ds_load_b64 v[7:8], v9 offset:16384
	ds_load_b64 v[18:19], v14 offset:16376
	ds_load_b64 v[20:21], v15
	v_cndmask_b32_e32 v14, s1, v16, vcc_lo
	s_delay_alu instid0(VALU_DEP_1)
	v_lshlrev_b32_e32 v42, 3, v14
	ds_load_2addr_stride64_b64 v[14:17], v42 offset1:8
	ds_load_b64 v[24:25], v6
	ds_load_b64 v[26:27], v5
	s_waitcnt lgkmcnt(6)
	v_div_scale_f64 v[22:23], null, v[10:11], v[10:11], v[3:4]
	v_div_scale_f64 v[38:39], vcc_lo, v[3:4], v[10:11], v[3:4]
	s_waitcnt lgkmcnt(1)
	v_div_scale_f64 v[28:29], null, v[16:17], v[16:17], v[24:25]
	s_delay_alu instid0(VALU_DEP_3) | instskip(NEXT) | instid1(VALU_DEP_1)
	v_rcp_f64_e32 v[30:31], v[22:23]
	v_rcp_f64_e32 v[32:33], v[28:29]
	s_waitcnt_depctr 0xfff
	v_fma_f64 v[34:35], -v[22:23], v[30:31], 1.0
	v_fma_f64 v[36:37], -v[28:29], v[32:33], 1.0
	s_delay_alu instid0(VALU_DEP_2) | instskip(NEXT) | instid1(VALU_DEP_2)
	v_fma_f64 v[30:31], v[30:31], v[34:35], v[30:31]
	v_fma_f64 v[32:33], v[32:33], v[36:37], v[32:33]
	s_delay_alu instid0(VALU_DEP_2) | instskip(NEXT) | instid1(VALU_DEP_2)
	v_fma_f64 v[34:35], -v[22:23], v[30:31], 1.0
	v_fma_f64 v[36:37], -v[28:29], v[32:33], 1.0
	s_delay_alu instid0(VALU_DEP_2) | instskip(SKIP_1) | instid1(VALU_DEP_3)
	v_fma_f64 v[30:31], v[30:31], v[34:35], v[30:31]
	v_div_scale_f64 v[34:35], s0, v[24:25], v[16:17], v[24:25]
	v_fma_f64 v[32:33], v[32:33], v[36:37], v[32:33]
	s_delay_alu instid0(VALU_DEP_3) | instskip(NEXT) | instid1(VALU_DEP_2)
	v_mul_f64 v[36:37], v[38:39], v[30:31]
	v_mul_f64 v[40:41], v[34:35], v[32:33]
	s_delay_alu instid0(VALU_DEP_2) | instskip(NEXT) | instid1(VALU_DEP_2)
	v_fma_f64 v[22:23], -v[22:23], v[36:37], v[38:39]
	v_fma_f64 v[28:29], -v[28:29], v[40:41], v[34:35]
	s_delay_alu instid0(VALU_DEP_2) | instskip(SKIP_1) | instid1(VALU_DEP_2)
	v_div_fmas_f64 v[22:23], v[22:23], v[30:31], v[36:37]
	s_mov_b32 vcc_lo, s0
	v_div_fmas_f64 v[28:29], v[28:29], v[32:33], v[40:41]
	s_delay_alu instid0(VALU_DEP_2) | instskip(NEXT) | instid1(VALU_DEP_2)
	v_div_fixup_f64 v[3:4], v[22:23], v[10:11], v[3:4]
	v_div_fixup_f64 v[16:17], v[28:29], v[16:17], v[24:25]
	s_delay_alu instid0(VALU_DEP_2)
	v_fma_f64 v[7:8], -v[3:4], v[18:19], v[7:8]
	s_waitcnt lgkmcnt(0)
	v_fma_f64 v[18:19], -v[3:4], v[12:13], v[26:27]
	ds_load_2addr_stride64_b64 v[10:13], v42 offset0:16 offset1:32
	v_mul_f64 v[3:4], v[3:4], -v[20:21]
	s_waitcnt lgkmcnt(0)
	s_barrier
	buffer_gl0_inv
	v_mul_f64 v[10:11], v[16:17], -v[10:11]
	v_fma_f64 v[7:8], -v[16:17], v[12:13], v[7:8]
	v_fma_f64 v[12:13], -v[16:17], v[14:15], v[18:19]
	v_max_u32_e32 v14, 2, v0
	v_add_nc_u32_e32 v16, 2, v0
	ds_store_b64 v9, v[7:8] offset:16384
	ds_store_b64 v9, v[3:4]
	ds_store_b64 v5, v[12:13]
	;; [unrolled: 1-line block ×3, first 2 shown]
	v_lshlrev_b32_e32 v14, 3, v14
	s_waitcnt lgkmcnt(0)
	s_barrier
	buffer_gl0_inv
	v_cmp_gt_i32_e32 vcc_lo, s3, v16
	v_add_nc_u32_e32 v15, 0x1f0, v14
	ds_load_2addr_stride64_b64 v[10:13], v15 offset0:7 offset1:15
	ds_load_b64 v[3:4], v9
	v_add_nc_u32_e32 v15, -16, v14
	ds_load_b64 v[7:8], v9 offset:16384
	ds_load_b64 v[18:19], v14 offset:16368
	ds_load_b64 v[20:21], v15
	v_cndmask_b32_e32 v14, s1, v16, vcc_lo
	s_delay_alu instid0(VALU_DEP_1)
	v_lshlrev_b32_e32 v42, 3, v14
	ds_load_2addr_stride64_b64 v[14:17], v42 offset1:8
	ds_load_b64 v[24:25], v6
	ds_load_b64 v[26:27], v5
	s_waitcnt lgkmcnt(6)
	v_div_scale_f64 v[22:23], null, v[10:11], v[10:11], v[3:4]
	v_div_scale_f64 v[38:39], vcc_lo, v[3:4], v[10:11], v[3:4]
	s_waitcnt lgkmcnt(1)
	v_div_scale_f64 v[28:29], null, v[16:17], v[16:17], v[24:25]
	s_delay_alu instid0(VALU_DEP_3) | instskip(NEXT) | instid1(VALU_DEP_1)
	v_rcp_f64_e32 v[30:31], v[22:23]
	v_rcp_f64_e32 v[32:33], v[28:29]
	s_waitcnt_depctr 0xfff
	v_fma_f64 v[34:35], -v[22:23], v[30:31], 1.0
	v_fma_f64 v[36:37], -v[28:29], v[32:33], 1.0
	s_delay_alu instid0(VALU_DEP_2) | instskip(NEXT) | instid1(VALU_DEP_2)
	v_fma_f64 v[30:31], v[30:31], v[34:35], v[30:31]
	v_fma_f64 v[32:33], v[32:33], v[36:37], v[32:33]
	s_delay_alu instid0(VALU_DEP_2) | instskip(NEXT) | instid1(VALU_DEP_2)
	v_fma_f64 v[34:35], -v[22:23], v[30:31], 1.0
	v_fma_f64 v[36:37], -v[28:29], v[32:33], 1.0
	s_delay_alu instid0(VALU_DEP_2) | instskip(SKIP_1) | instid1(VALU_DEP_3)
	v_fma_f64 v[30:31], v[30:31], v[34:35], v[30:31]
	v_div_scale_f64 v[34:35], s0, v[24:25], v[16:17], v[24:25]
	v_fma_f64 v[32:33], v[32:33], v[36:37], v[32:33]
	s_delay_alu instid0(VALU_DEP_3) | instskip(NEXT) | instid1(VALU_DEP_2)
	v_mul_f64 v[36:37], v[38:39], v[30:31]
	v_mul_f64 v[40:41], v[34:35], v[32:33]
	s_delay_alu instid0(VALU_DEP_2) | instskip(NEXT) | instid1(VALU_DEP_2)
	v_fma_f64 v[22:23], -v[22:23], v[36:37], v[38:39]
	v_fma_f64 v[28:29], -v[28:29], v[40:41], v[34:35]
	s_delay_alu instid0(VALU_DEP_2) | instskip(SKIP_1) | instid1(VALU_DEP_2)
	v_div_fmas_f64 v[22:23], v[22:23], v[30:31], v[36:37]
	s_mov_b32 vcc_lo, s0
	v_div_fmas_f64 v[28:29], v[28:29], v[32:33], v[40:41]
	s_delay_alu instid0(VALU_DEP_2) | instskip(NEXT) | instid1(VALU_DEP_2)
	v_div_fixup_f64 v[3:4], v[22:23], v[10:11], v[3:4]
	v_div_fixup_f64 v[16:17], v[28:29], v[16:17], v[24:25]
	s_delay_alu instid0(VALU_DEP_2)
	v_fma_f64 v[7:8], -v[3:4], v[18:19], v[7:8]
	s_waitcnt lgkmcnt(0)
	v_fma_f64 v[18:19], -v[3:4], v[12:13], v[26:27]
	ds_load_2addr_stride64_b64 v[10:13], v42 offset0:16 offset1:32
	v_mul_f64 v[3:4], v[3:4], -v[20:21]
	s_waitcnt lgkmcnt(0)
	s_barrier
	buffer_gl0_inv
	v_mul_f64 v[10:11], v[16:17], -v[10:11]
	v_fma_f64 v[7:8], -v[16:17], v[12:13], v[7:8]
	v_fma_f64 v[12:13], -v[16:17], v[14:15], v[18:19]
	v_max_u32_e32 v14, 4, v0
	v_add_nc_u32_e32 v16, 4, v0
	ds_store_b64 v9, v[7:8] offset:16384
	ds_store_b64 v9, v[3:4]
	ds_store_b64 v5, v[12:13]
	;; [unrolled: 1-line block ×3, first 2 shown]
	v_lshlrev_b32_e32 v14, 3, v14
	s_waitcnt lgkmcnt(0)
	s_barrier
	buffer_gl0_inv
	v_cmp_gt_i32_e32 vcc_lo, s3, v16
	v_add_nc_u32_e32 v15, 0x1e0, v14
	ds_load_2addr_stride64_b64 v[10:13], v15 offset0:7 offset1:15
	ds_load_b64 v[3:4], v9
	v_subrev_nc_u32_e32 v15, 32, v14
	ds_load_b64 v[7:8], v9 offset:16384
	ds_load_b64 v[18:19], v14 offset:16352
	ds_load_b64 v[20:21], v15
	v_cndmask_b32_e32 v14, s1, v16, vcc_lo
	s_delay_alu instid0(VALU_DEP_1)
	v_lshlrev_b32_e32 v42, 3, v14
	ds_load_2addr_stride64_b64 v[14:17], v42 offset1:8
	ds_load_b64 v[24:25], v6
	ds_load_b64 v[26:27], v5
	s_waitcnt lgkmcnt(6)
	v_div_scale_f64 v[22:23], null, v[10:11], v[10:11], v[3:4]
	v_div_scale_f64 v[38:39], vcc_lo, v[3:4], v[10:11], v[3:4]
	s_waitcnt lgkmcnt(1)
	v_div_scale_f64 v[28:29], null, v[16:17], v[16:17], v[24:25]
	s_delay_alu instid0(VALU_DEP_3) | instskip(NEXT) | instid1(VALU_DEP_1)
	v_rcp_f64_e32 v[30:31], v[22:23]
	v_rcp_f64_e32 v[32:33], v[28:29]
	s_waitcnt_depctr 0xfff
	v_fma_f64 v[34:35], -v[22:23], v[30:31], 1.0
	v_fma_f64 v[36:37], -v[28:29], v[32:33], 1.0
	s_delay_alu instid0(VALU_DEP_2) | instskip(NEXT) | instid1(VALU_DEP_2)
	v_fma_f64 v[30:31], v[30:31], v[34:35], v[30:31]
	v_fma_f64 v[32:33], v[32:33], v[36:37], v[32:33]
	s_delay_alu instid0(VALU_DEP_2) | instskip(NEXT) | instid1(VALU_DEP_2)
	v_fma_f64 v[34:35], -v[22:23], v[30:31], 1.0
	v_fma_f64 v[36:37], -v[28:29], v[32:33], 1.0
	s_delay_alu instid0(VALU_DEP_2) | instskip(SKIP_1) | instid1(VALU_DEP_3)
	v_fma_f64 v[30:31], v[30:31], v[34:35], v[30:31]
	v_div_scale_f64 v[34:35], s0, v[24:25], v[16:17], v[24:25]
	v_fma_f64 v[32:33], v[32:33], v[36:37], v[32:33]
	s_delay_alu instid0(VALU_DEP_3) | instskip(NEXT) | instid1(VALU_DEP_2)
	v_mul_f64 v[36:37], v[38:39], v[30:31]
	v_mul_f64 v[40:41], v[34:35], v[32:33]
	s_delay_alu instid0(VALU_DEP_2) | instskip(NEXT) | instid1(VALU_DEP_2)
	v_fma_f64 v[22:23], -v[22:23], v[36:37], v[38:39]
	v_fma_f64 v[28:29], -v[28:29], v[40:41], v[34:35]
	s_delay_alu instid0(VALU_DEP_2) | instskip(SKIP_1) | instid1(VALU_DEP_2)
	v_div_fmas_f64 v[22:23], v[22:23], v[30:31], v[36:37]
	s_mov_b32 vcc_lo, s0
	v_div_fmas_f64 v[28:29], v[28:29], v[32:33], v[40:41]
	s_delay_alu instid0(VALU_DEP_2) | instskip(NEXT) | instid1(VALU_DEP_2)
	v_div_fixup_f64 v[3:4], v[22:23], v[10:11], v[3:4]
	v_div_fixup_f64 v[16:17], v[28:29], v[16:17], v[24:25]
	s_delay_alu instid0(VALU_DEP_2)
	v_fma_f64 v[7:8], -v[3:4], v[18:19], v[7:8]
	s_waitcnt lgkmcnt(0)
	v_fma_f64 v[18:19], -v[3:4], v[12:13], v[26:27]
	ds_load_2addr_stride64_b64 v[10:13], v42 offset0:16 offset1:32
	v_mul_f64 v[3:4], v[3:4], -v[20:21]
	s_waitcnt lgkmcnt(0)
	s_barrier
	buffer_gl0_inv
	v_mul_f64 v[10:11], v[16:17], -v[10:11]
	v_fma_f64 v[7:8], -v[16:17], v[12:13], v[7:8]
	v_fma_f64 v[12:13], -v[16:17], v[14:15], v[18:19]
	v_max_u32_e32 v14, 8, v0
	v_add_nc_u32_e32 v16, 8, v0
	ds_store_b64 v9, v[7:8] offset:16384
	ds_store_b64 v9, v[3:4]
	ds_store_b64 v5, v[12:13]
	ds_store_b64 v6, v[10:11]
	v_lshlrev_b32_e32 v14, 3, v14
	s_waitcnt lgkmcnt(0)
	s_barrier
	buffer_gl0_inv
	v_cmp_gt_i32_e32 vcc_lo, s3, v16
	v_add_nc_u32_e32 v15, 0x1c0, v14
	ds_load_2addr_stride64_b64 v[10:13], v15 offset0:7 offset1:15
	ds_load_b64 v[3:4], v9
	v_subrev_nc_u32_e32 v15, 64, v14
	ds_load_b64 v[7:8], v9 offset:16384
	ds_load_b64 v[18:19], v14 offset:16320
	ds_load_b64 v[20:21], v15
	v_cndmask_b32_e32 v14, s1, v16, vcc_lo
	s_delay_alu instid0(VALU_DEP_1)
	v_lshlrev_b32_e32 v42, 3, v14
	ds_load_2addr_stride64_b64 v[14:17], v42 offset1:8
	ds_load_b64 v[24:25], v6
	ds_load_b64 v[26:27], v5
	s_waitcnt lgkmcnt(6)
	v_div_scale_f64 v[22:23], null, v[10:11], v[10:11], v[3:4]
	v_div_scale_f64 v[38:39], vcc_lo, v[3:4], v[10:11], v[3:4]
	s_waitcnt lgkmcnt(1)
	v_div_scale_f64 v[28:29], null, v[16:17], v[16:17], v[24:25]
	s_delay_alu instid0(VALU_DEP_3) | instskip(NEXT) | instid1(VALU_DEP_1)
	v_rcp_f64_e32 v[30:31], v[22:23]
	v_rcp_f64_e32 v[32:33], v[28:29]
	s_waitcnt_depctr 0xfff
	v_fma_f64 v[34:35], -v[22:23], v[30:31], 1.0
	v_fma_f64 v[36:37], -v[28:29], v[32:33], 1.0
	s_delay_alu instid0(VALU_DEP_2) | instskip(NEXT) | instid1(VALU_DEP_2)
	v_fma_f64 v[30:31], v[30:31], v[34:35], v[30:31]
	v_fma_f64 v[32:33], v[32:33], v[36:37], v[32:33]
	s_delay_alu instid0(VALU_DEP_2) | instskip(NEXT) | instid1(VALU_DEP_2)
	v_fma_f64 v[34:35], -v[22:23], v[30:31], 1.0
	v_fma_f64 v[36:37], -v[28:29], v[32:33], 1.0
	s_delay_alu instid0(VALU_DEP_2) | instskip(SKIP_1) | instid1(VALU_DEP_3)
	v_fma_f64 v[30:31], v[30:31], v[34:35], v[30:31]
	v_div_scale_f64 v[34:35], s0, v[24:25], v[16:17], v[24:25]
	v_fma_f64 v[32:33], v[32:33], v[36:37], v[32:33]
	s_delay_alu instid0(VALU_DEP_3) | instskip(NEXT) | instid1(VALU_DEP_2)
	v_mul_f64 v[36:37], v[38:39], v[30:31]
	v_mul_f64 v[40:41], v[34:35], v[32:33]
	s_delay_alu instid0(VALU_DEP_2) | instskip(NEXT) | instid1(VALU_DEP_2)
	v_fma_f64 v[22:23], -v[22:23], v[36:37], v[38:39]
	v_fma_f64 v[28:29], -v[28:29], v[40:41], v[34:35]
	s_delay_alu instid0(VALU_DEP_2) | instskip(SKIP_1) | instid1(VALU_DEP_2)
	v_div_fmas_f64 v[22:23], v[22:23], v[30:31], v[36:37]
	s_mov_b32 vcc_lo, s0
	v_div_fmas_f64 v[28:29], v[28:29], v[32:33], v[40:41]
	s_delay_alu instid0(VALU_DEP_2) | instskip(NEXT) | instid1(VALU_DEP_2)
	v_div_fixup_f64 v[3:4], v[22:23], v[10:11], v[3:4]
	v_div_fixup_f64 v[16:17], v[28:29], v[16:17], v[24:25]
	s_delay_alu instid0(VALU_DEP_2)
	v_fma_f64 v[7:8], -v[3:4], v[18:19], v[7:8]
	s_waitcnt lgkmcnt(0)
	v_fma_f64 v[18:19], -v[3:4], v[12:13], v[26:27]
	ds_load_2addr_stride64_b64 v[10:13], v42 offset0:16 offset1:32
	v_mul_f64 v[3:4], v[3:4], -v[20:21]
	s_waitcnt lgkmcnt(0)
	s_barrier
	buffer_gl0_inv
	v_mul_f64 v[10:11], v[16:17], -v[10:11]
	v_fma_f64 v[7:8], -v[16:17], v[12:13], v[7:8]
	v_fma_f64 v[12:13], -v[16:17], v[14:15], v[18:19]
	v_max_u32_e32 v14, 16, v0
	v_add_nc_u32_e32 v16, 16, v0
	ds_store_b64 v9, v[7:8] offset:16384
	ds_store_b64 v9, v[3:4]
	ds_store_b64 v5, v[12:13]
	;; [unrolled: 1-line block ×3, first 2 shown]
	v_lshlrev_b32_e32 v14, 3, v14
	s_waitcnt lgkmcnt(0)
	s_barrier
	buffer_gl0_inv
	v_cmp_gt_i32_e32 vcc_lo, s3, v16
	v_add_nc_u32_e32 v15, 0x180, v14
	ds_load_2addr_stride64_b64 v[10:13], v15 offset0:7 offset1:15
	ds_load_b64 v[3:4], v9
	v_add_nc_u32_e32 v15, 0xffffff80, v14
	ds_load_b64 v[7:8], v9 offset:16384
	ds_load_b64 v[18:19], v14 offset:16256
	ds_load_b64 v[20:21], v15
	v_cndmask_b32_e32 v14, s1, v16, vcc_lo
	s_delay_alu instid0(VALU_DEP_1)
	v_lshlrev_b32_e32 v42, 3, v14
	ds_load_2addr_stride64_b64 v[14:17], v42 offset1:8
	ds_load_b64 v[24:25], v6
	ds_load_b64 v[26:27], v5
	s_waitcnt lgkmcnt(6)
	v_div_scale_f64 v[22:23], null, v[10:11], v[10:11], v[3:4]
	v_div_scale_f64 v[38:39], vcc_lo, v[3:4], v[10:11], v[3:4]
	s_waitcnt lgkmcnt(1)
	v_div_scale_f64 v[28:29], null, v[16:17], v[16:17], v[24:25]
	s_delay_alu instid0(VALU_DEP_3) | instskip(NEXT) | instid1(VALU_DEP_1)
	v_rcp_f64_e32 v[30:31], v[22:23]
	v_rcp_f64_e32 v[32:33], v[28:29]
	s_waitcnt_depctr 0xfff
	v_fma_f64 v[34:35], -v[22:23], v[30:31], 1.0
	v_fma_f64 v[36:37], -v[28:29], v[32:33], 1.0
	s_delay_alu instid0(VALU_DEP_2) | instskip(NEXT) | instid1(VALU_DEP_2)
	v_fma_f64 v[30:31], v[30:31], v[34:35], v[30:31]
	v_fma_f64 v[32:33], v[32:33], v[36:37], v[32:33]
	s_delay_alu instid0(VALU_DEP_2) | instskip(NEXT) | instid1(VALU_DEP_2)
	v_fma_f64 v[34:35], -v[22:23], v[30:31], 1.0
	v_fma_f64 v[36:37], -v[28:29], v[32:33], 1.0
	s_delay_alu instid0(VALU_DEP_2) | instskip(SKIP_1) | instid1(VALU_DEP_3)
	v_fma_f64 v[30:31], v[30:31], v[34:35], v[30:31]
	v_div_scale_f64 v[34:35], s0, v[24:25], v[16:17], v[24:25]
	v_fma_f64 v[32:33], v[32:33], v[36:37], v[32:33]
	s_delay_alu instid0(VALU_DEP_3) | instskip(NEXT) | instid1(VALU_DEP_2)
	v_mul_f64 v[36:37], v[38:39], v[30:31]
	v_mul_f64 v[40:41], v[34:35], v[32:33]
	s_delay_alu instid0(VALU_DEP_2) | instskip(NEXT) | instid1(VALU_DEP_2)
	v_fma_f64 v[22:23], -v[22:23], v[36:37], v[38:39]
	v_fma_f64 v[28:29], -v[28:29], v[40:41], v[34:35]
	s_delay_alu instid0(VALU_DEP_2) | instskip(SKIP_1) | instid1(VALU_DEP_2)
	v_div_fmas_f64 v[22:23], v[22:23], v[30:31], v[36:37]
	s_mov_b32 vcc_lo, s0
	v_div_fmas_f64 v[28:29], v[28:29], v[32:33], v[40:41]
	s_delay_alu instid0(VALU_DEP_2) | instskip(NEXT) | instid1(VALU_DEP_2)
	v_div_fixup_f64 v[3:4], v[22:23], v[10:11], v[3:4]
	v_div_fixup_f64 v[16:17], v[28:29], v[16:17], v[24:25]
	s_delay_alu instid0(VALU_DEP_2)
	v_fma_f64 v[7:8], -v[3:4], v[18:19], v[7:8]
	s_waitcnt lgkmcnt(0)
	v_fma_f64 v[18:19], -v[3:4], v[12:13], v[26:27]
	ds_load_2addr_stride64_b64 v[10:13], v42 offset0:16 offset1:32
	v_mul_f64 v[3:4], v[3:4], -v[20:21]
	s_waitcnt lgkmcnt(0)
	s_barrier
	buffer_gl0_inv
	v_mul_f64 v[10:11], v[16:17], -v[10:11]
	v_fma_f64 v[7:8], -v[16:17], v[12:13], v[7:8]
	v_fma_f64 v[12:13], -v[16:17], v[14:15], v[18:19]
	v_max_u32_e32 v14, 32, v0
	ds_store_b64 v9, v[7:8] offset:16384
	ds_store_b64 v9, v[3:4]
	ds_store_b64 v5, v[12:13]
	;; [unrolled: 1-line block ×3, first 2 shown]
	v_lshlrev_b32_e32 v14, 3, v14
	s_waitcnt lgkmcnt(0)
	s_barrier
	buffer_gl0_inv
	v_add_nc_u32_e32 v16, 32, v0
	v_add_nc_u32_e32 v15, 0x100, v14
	ds_load_2addr_stride64_b64 v[10:13], v15 offset0:7 offset1:15
	ds_load_b64 v[3:4], v9
	v_cmp_gt_i32_e32 vcc_lo, s3, v16
	v_add_nc_u32_e32 v15, 0xffffff00, v14
	ds_load_b64 v[7:8], v9 offset:16384
	ds_load_b64 v[18:19], v14 offset:16128
	ds_load_b64 v[20:21], v15
	v_cndmask_b32_e32 v14, s1, v16, vcc_lo
	s_delay_alu instid0(VALU_DEP_1)
	v_lshlrev_b32_e32 v42, 3, v14
	ds_load_2addr_stride64_b64 v[14:17], v42 offset1:8
	ds_load_b64 v[24:25], v6
	ds_load_b64 v[26:27], v5
	s_waitcnt lgkmcnt(6)
	v_div_scale_f64 v[22:23], null, v[10:11], v[10:11], v[3:4]
	v_div_scale_f64 v[38:39], vcc_lo, v[3:4], v[10:11], v[3:4]
	s_waitcnt lgkmcnt(1)
	v_div_scale_f64 v[28:29], null, v[16:17], v[16:17], v[24:25]
	s_delay_alu instid0(VALU_DEP_3) | instskip(NEXT) | instid1(VALU_DEP_1)
	v_rcp_f64_e32 v[30:31], v[22:23]
	v_rcp_f64_e32 v[32:33], v[28:29]
	s_waitcnt_depctr 0xfff
	v_fma_f64 v[34:35], -v[22:23], v[30:31], 1.0
	v_fma_f64 v[36:37], -v[28:29], v[32:33], 1.0
	s_delay_alu instid0(VALU_DEP_2) | instskip(NEXT) | instid1(VALU_DEP_2)
	v_fma_f64 v[30:31], v[30:31], v[34:35], v[30:31]
	v_fma_f64 v[32:33], v[32:33], v[36:37], v[32:33]
	s_delay_alu instid0(VALU_DEP_2) | instskip(NEXT) | instid1(VALU_DEP_2)
	v_fma_f64 v[34:35], -v[22:23], v[30:31], 1.0
	v_fma_f64 v[36:37], -v[28:29], v[32:33], 1.0
	s_delay_alu instid0(VALU_DEP_2) | instskip(SKIP_1) | instid1(VALU_DEP_3)
	v_fma_f64 v[30:31], v[30:31], v[34:35], v[30:31]
	v_div_scale_f64 v[34:35], s0, v[24:25], v[16:17], v[24:25]
	v_fma_f64 v[32:33], v[32:33], v[36:37], v[32:33]
	s_delay_alu instid0(VALU_DEP_3) | instskip(NEXT) | instid1(VALU_DEP_2)
	v_mul_f64 v[36:37], v[38:39], v[30:31]
	v_mul_f64 v[40:41], v[34:35], v[32:33]
	s_delay_alu instid0(VALU_DEP_2) | instskip(NEXT) | instid1(VALU_DEP_2)
	v_fma_f64 v[22:23], -v[22:23], v[36:37], v[38:39]
	v_fma_f64 v[28:29], -v[28:29], v[40:41], v[34:35]
	s_delay_alu instid0(VALU_DEP_2) | instskip(SKIP_1) | instid1(VALU_DEP_2)
	v_div_fmas_f64 v[22:23], v[22:23], v[30:31], v[36:37]
	s_mov_b32 vcc_lo, s0
	v_div_fmas_f64 v[28:29], v[28:29], v[32:33], v[40:41]
	s_delay_alu instid0(VALU_DEP_2) | instskip(NEXT) | instid1(VALU_DEP_2)
	v_div_fixup_f64 v[3:4], v[22:23], v[10:11], v[3:4]
	v_div_fixup_f64 v[16:17], v[28:29], v[16:17], v[24:25]
	s_delay_alu instid0(VALU_DEP_2)
	v_fma_f64 v[7:8], -v[3:4], v[18:19], v[7:8]
	s_waitcnt lgkmcnt(0)
	v_fma_f64 v[18:19], -v[3:4], v[12:13], v[26:27]
	ds_load_2addr_stride64_b64 v[10:13], v42 offset0:16 offset1:32
	v_mul_f64 v[3:4], v[3:4], -v[20:21]
	s_waitcnt lgkmcnt(0)
	s_barrier
	buffer_gl0_inv
	v_mul_f64 v[10:11], v[16:17], -v[10:11]
	v_fma_f64 v[7:8], -v[16:17], v[12:13], v[7:8]
	v_fma_f64 v[12:13], -v[16:17], v[14:15], v[18:19]
	v_max_u32_e32 v14, 64, v0
	ds_store_b64 v9, v[7:8] offset:16384
	ds_store_b64 v9, v[3:4]
	ds_store_b64 v5, v[12:13]
	;; [unrolled: 1-line block ×3, first 2 shown]
	v_lshlrev_b32_e32 v14, 3, v14
	s_waitcnt lgkmcnt(0)
	s_barrier
	buffer_gl0_inv
	ds_load_2addr_stride64_b64 v[10:13], v14 offset0:7 offset1:15
	ds_load_b64 v[3:4], v9
	v_add_nc_u32_e32 v16, 64, v0
	v_add_nc_u32_e32 v15, 0xfffffe00, v14
	ds_load_b64 v[7:8], v9 offset:16384
	ds_load_b64 v[18:19], v14 offset:15872
	ds_load_b64 v[20:21], v15
	v_cmp_gt_i32_e32 vcc_lo, s3, v16
	v_cndmask_b32_e32 v14, s1, v16, vcc_lo
	s_delay_alu instid0(VALU_DEP_1)
	v_lshlrev_b32_e32 v42, 3, v14
	ds_load_2addr_stride64_b64 v[14:17], v42 offset1:8
	ds_load_b64 v[24:25], v6
	ds_load_b64 v[26:27], v5
	s_waitcnt lgkmcnt(6)
	v_div_scale_f64 v[22:23], null, v[10:11], v[10:11], v[3:4]
	v_div_scale_f64 v[38:39], vcc_lo, v[3:4], v[10:11], v[3:4]
	s_waitcnt lgkmcnt(1)
	v_div_scale_f64 v[28:29], null, v[16:17], v[16:17], v[24:25]
	s_delay_alu instid0(VALU_DEP_3) | instskip(NEXT) | instid1(VALU_DEP_1)
	v_rcp_f64_e32 v[30:31], v[22:23]
	v_rcp_f64_e32 v[32:33], v[28:29]
	s_waitcnt_depctr 0xfff
	v_fma_f64 v[34:35], -v[22:23], v[30:31], 1.0
	v_fma_f64 v[36:37], -v[28:29], v[32:33], 1.0
	s_delay_alu instid0(VALU_DEP_2) | instskip(NEXT) | instid1(VALU_DEP_2)
	v_fma_f64 v[30:31], v[30:31], v[34:35], v[30:31]
	v_fma_f64 v[32:33], v[32:33], v[36:37], v[32:33]
	s_delay_alu instid0(VALU_DEP_2) | instskip(NEXT) | instid1(VALU_DEP_2)
	v_fma_f64 v[34:35], -v[22:23], v[30:31], 1.0
	v_fma_f64 v[36:37], -v[28:29], v[32:33], 1.0
	s_delay_alu instid0(VALU_DEP_2) | instskip(SKIP_1) | instid1(VALU_DEP_3)
	v_fma_f64 v[30:31], v[30:31], v[34:35], v[30:31]
	v_div_scale_f64 v[34:35], s0, v[24:25], v[16:17], v[24:25]
	v_fma_f64 v[32:33], v[32:33], v[36:37], v[32:33]
	s_delay_alu instid0(VALU_DEP_3) | instskip(NEXT) | instid1(VALU_DEP_2)
	v_mul_f64 v[36:37], v[38:39], v[30:31]
	v_mul_f64 v[40:41], v[34:35], v[32:33]
	s_delay_alu instid0(VALU_DEP_2) | instskip(NEXT) | instid1(VALU_DEP_2)
	v_fma_f64 v[22:23], -v[22:23], v[36:37], v[38:39]
	v_fma_f64 v[28:29], -v[28:29], v[40:41], v[34:35]
	s_delay_alu instid0(VALU_DEP_2) | instskip(SKIP_1) | instid1(VALU_DEP_2)
	v_div_fmas_f64 v[22:23], v[22:23], v[30:31], v[36:37]
	s_mov_b32 vcc_lo, s0
	v_div_fmas_f64 v[28:29], v[28:29], v[32:33], v[40:41]
	s_delay_alu instid0(VALU_DEP_2) | instskip(NEXT) | instid1(VALU_DEP_2)
	v_div_fixup_f64 v[3:4], v[22:23], v[10:11], v[3:4]
	v_div_fixup_f64 v[16:17], v[28:29], v[16:17], v[24:25]
	s_delay_alu instid0(VALU_DEP_2)
	v_fma_f64 v[7:8], -v[3:4], v[18:19], v[7:8]
	s_waitcnt lgkmcnt(0)
	v_fma_f64 v[18:19], -v[3:4], v[12:13], v[26:27]
	ds_load_2addr_stride64_b64 v[10:13], v42 offset0:16 offset1:32
	v_mul_f64 v[3:4], v[3:4], -v[20:21]
	s_waitcnt lgkmcnt(0)
	s_barrier
	buffer_gl0_inv
	v_mul_f64 v[10:11], v[16:17], -v[10:11]
	v_fma_f64 v[7:8], -v[16:17], v[12:13], v[7:8]
	v_fma_f64 v[12:13], -v[16:17], v[14:15], v[18:19]
	v_max_u32_e32 v14, 0x80, v0
	ds_store_b64 v9, v[7:8] offset:16384
	ds_store_b64 v9, v[3:4]
	ds_store_b64 v5, v[12:13]
	;; [unrolled: 1-line block ×3, first 2 shown]
	v_lshlrev_b32_e32 v14, 3, v14
	s_waitcnt lgkmcnt(0)
	s_barrier
	buffer_gl0_inv
	ds_load_2addr_stride64_b64 v[10:13], v14 offset0:6 offset1:14
	ds_load_b64 v[3:4], v9
	v_add_nc_u32_e32 v16, 0x80, v0
	v_add_nc_u32_e32 v15, 0xfffffc00, v14
	ds_load_b64 v[7:8], v9 offset:16384
	ds_load_b64 v[18:19], v14 offset:15360
	ds_load_b64 v[20:21], v15
	v_cmp_gt_i32_e32 vcc_lo, s3, v16
	v_cndmask_b32_e32 v14, s1, v16, vcc_lo
	s_delay_alu instid0(VALU_DEP_1)
	v_lshlrev_b32_e32 v42, 3, v14
	ds_load_2addr_stride64_b64 v[14:17], v42 offset1:8
	ds_load_b64 v[24:25], v6
	ds_load_b64 v[26:27], v5
	s_waitcnt lgkmcnt(6)
	v_div_scale_f64 v[22:23], null, v[10:11], v[10:11], v[3:4]
	v_div_scale_f64 v[38:39], vcc_lo, v[3:4], v[10:11], v[3:4]
	s_waitcnt lgkmcnt(1)
	v_div_scale_f64 v[28:29], null, v[16:17], v[16:17], v[24:25]
	s_delay_alu instid0(VALU_DEP_3) | instskip(NEXT) | instid1(VALU_DEP_1)
	v_rcp_f64_e32 v[30:31], v[22:23]
	v_rcp_f64_e32 v[32:33], v[28:29]
	s_waitcnt_depctr 0xfff
	v_fma_f64 v[34:35], -v[22:23], v[30:31], 1.0
	v_fma_f64 v[36:37], -v[28:29], v[32:33], 1.0
	s_delay_alu instid0(VALU_DEP_2) | instskip(NEXT) | instid1(VALU_DEP_2)
	v_fma_f64 v[30:31], v[30:31], v[34:35], v[30:31]
	v_fma_f64 v[32:33], v[32:33], v[36:37], v[32:33]
	s_delay_alu instid0(VALU_DEP_2) | instskip(NEXT) | instid1(VALU_DEP_2)
	v_fma_f64 v[34:35], -v[22:23], v[30:31], 1.0
	v_fma_f64 v[36:37], -v[28:29], v[32:33], 1.0
	s_delay_alu instid0(VALU_DEP_2) | instskip(SKIP_1) | instid1(VALU_DEP_3)
	v_fma_f64 v[30:31], v[30:31], v[34:35], v[30:31]
	v_div_scale_f64 v[34:35], s0, v[24:25], v[16:17], v[24:25]
	v_fma_f64 v[32:33], v[32:33], v[36:37], v[32:33]
	s_delay_alu instid0(VALU_DEP_3) | instskip(NEXT) | instid1(VALU_DEP_2)
	v_mul_f64 v[36:37], v[38:39], v[30:31]
	v_mul_f64 v[40:41], v[34:35], v[32:33]
	s_delay_alu instid0(VALU_DEP_2) | instskip(NEXT) | instid1(VALU_DEP_2)
	v_fma_f64 v[22:23], -v[22:23], v[36:37], v[38:39]
	v_fma_f64 v[28:29], -v[28:29], v[40:41], v[34:35]
	s_delay_alu instid0(VALU_DEP_2) | instskip(SKIP_2) | instid1(VALU_DEP_2)
	v_div_fmas_f64 v[22:23], v[22:23], v[30:31], v[36:37]
	s_mov_b32 vcc_lo, s0
	s_mov_b32 s0, exec_lo
	v_div_fmas_f64 v[28:29], v[28:29], v[32:33], v[40:41]
	s_delay_alu instid0(VALU_DEP_2) | instskip(NEXT) | instid1(VALU_DEP_2)
	v_div_fixup_f64 v[3:4], v[22:23], v[10:11], v[3:4]
	v_div_fixup_f64 v[16:17], v[28:29], v[16:17], v[24:25]
	s_delay_alu instid0(VALU_DEP_2)
	v_fma_f64 v[7:8], -v[3:4], v[18:19], v[7:8]
	s_waitcnt lgkmcnt(0)
	v_fma_f64 v[18:19], -v[3:4], v[12:13], v[26:27]
	ds_load_2addr_stride64_b64 v[10:13], v42 offset0:16 offset1:32
	v_mul_f64 v[3:4], v[3:4], -v[20:21]
	s_waitcnt lgkmcnt(0)
	s_barrier
	buffer_gl0_inv
	v_mul_f64 v[10:11], v[16:17], -v[10:11]
	v_fma_f64 v[7:8], -v[16:17], v[12:13], v[7:8]
	v_fma_f64 v[12:13], -v[16:17], v[14:15], v[18:19]
	ds_store_b64 v9, v[7:8] offset:16384
	ds_store_b64 v9, v[3:4]
	ds_store_b64 v5, v[12:13]
	;; [unrolled: 1-line block ×3, first 2 shown]
	s_waitcnt lgkmcnt(0)
	s_barrier
	buffer_gl0_inv
	v_cmpx_gt_u32_e32 0x100, v0
	s_cbranch_execz .LBB37_14
; %bb.9:
	v_or_b32_e32 v7, 0x100, v0
	v_or_b32_e32 v8, 0x4000, v9
	s_mov_b32 s1, exec_lo
                                        ; implicit-def: $vgpr3_vgpr4
	s_delay_alu instid0(VALU_DEP_2)
	v_cmpx_le_i32_e64 s3, v7
	s_xor_b32 s1, exec_lo, s1
	s_cbranch_execz .LBB37_11
; %bb.10:
	ds_load_b64 v[3:4], v8
	ds_load_b64 v[5:6], v5
	s_waitcnt lgkmcnt(0)
	v_div_scale_f64 v[7:8], null, v[5:6], v[5:6], v[3:4]
	s_delay_alu instid0(VALU_DEP_1) | instskip(SKIP_2) | instid1(VALU_DEP_1)
	v_rcp_f64_e32 v[10:11], v[7:8]
	s_waitcnt_depctr 0xfff
	v_fma_f64 v[12:13], -v[7:8], v[10:11], 1.0
	v_fma_f64 v[10:11], v[10:11], v[12:13], v[10:11]
	s_delay_alu instid0(VALU_DEP_1) | instskip(NEXT) | instid1(VALU_DEP_1)
	v_fma_f64 v[12:13], -v[7:8], v[10:11], 1.0
	v_fma_f64 v[10:11], v[10:11], v[12:13], v[10:11]
	v_div_scale_f64 v[12:13], vcc_lo, v[3:4], v[5:6], v[3:4]
	s_delay_alu instid0(VALU_DEP_1) | instskip(NEXT) | instid1(VALU_DEP_1)
	v_mul_f64 v[14:15], v[12:13], v[10:11]
	v_fma_f64 v[7:8], -v[7:8], v[14:15], v[12:13]
	s_delay_alu instid0(VALU_DEP_1) | instskip(NEXT) | instid1(VALU_DEP_1)
	v_div_fmas_f64 v[7:8], v[7:8], v[10:11], v[14:15]
	v_div_fixup_f64 v[3:4], v[7:8], v[5:6], v[3:4]
                                        ; implicit-def: $vgpr5
                                        ; implicit-def: $vgpr6
                                        ; implicit-def: $vgpr8
                                        ; implicit-def: $vgpr7
.LBB37_11:
	s_and_not1_saveexec_b32 s1, s1
	s_cbranch_execz .LBB37_13
; %bb.12:
	ds_load_b64 v[14:15], v6
	ds_load_b64 v[16:17], v9 offset:2048
	ds_load_2addr_stride64_b64 v[3:6], v5 offset1:4
	v_mov_b32_e32 v0, v7
	s_waitcnt lgkmcnt(1)
	v_mul_f64 v[10:11], v[14:15], v[16:17]
	s_waitcnt lgkmcnt(0)
	s_delay_alu instid0(VALU_DEP_1) | instskip(NEXT) | instid1(VALU_DEP_1)
	v_fma_f64 v[18:19], v[5:6], v[3:4], -v[10:11]
	v_div_scale_f64 v[10:11], null, v[18:19], v[18:19], 1.0
	v_div_scale_f64 v[22:23], vcc_lo, 1.0, v[18:19], 1.0
	s_delay_alu instid0(VALU_DEP_2) | instskip(SKIP_2) | instid1(VALU_DEP_1)
	v_rcp_f64_e32 v[12:13], v[10:11]
	s_waitcnt_depctr 0xfff
	v_fma_f64 v[20:21], -v[10:11], v[12:13], 1.0
	v_fma_f64 v[12:13], v[12:13], v[20:21], v[12:13]
	s_delay_alu instid0(VALU_DEP_1) | instskip(NEXT) | instid1(VALU_DEP_1)
	v_fma_f64 v[20:21], -v[10:11], v[12:13], 1.0
	v_fma_f64 v[20:21], v[12:13], v[20:21], v[12:13]
	s_delay_alu instid0(VALU_DEP_1) | instskip(NEXT) | instid1(VALU_DEP_1)
	v_mul_f64 v[24:25], v[22:23], v[20:21]
	v_fma_f64 v[22:23], -v[10:11], v[24:25], v[22:23]
	ds_load_2addr_stride64_b64 v[10:13], v8 offset1:4
	s_waitcnt lgkmcnt(0)
	v_mul_f64 v[14:15], v[14:15], v[12:13]
	v_mul_f64 v[16:17], v[16:17], v[10:11]
	v_div_fmas_f64 v[20:21], v[22:23], v[20:21], v[24:25]
	s_delay_alu instid0(VALU_DEP_3) | instskip(NEXT) | instid1(VALU_DEP_3)
	v_fma_f64 v[5:6], v[5:6], v[10:11], -v[14:15]
	v_fma_f64 v[3:4], v[3:4], v[12:13], -v[16:17]
	s_delay_alu instid0(VALU_DEP_3) | instskip(NEXT) | instid1(VALU_DEP_1)
	v_div_fixup_f64 v[18:19], v[20:21], v[18:19], 1.0
	v_mul_f64 v[5:6], v[18:19], v[5:6]
	s_delay_alu instid0(VALU_DEP_3)
	v_mul_f64 v[3:4], v[18:19], v[3:4]
	ds_store_b64 v9, v[5:6] offset:12288
.LBB37_13:
	s_or_b32 exec_lo, exec_lo, s1
	v_lshlrev_b32_e32 v0, 3, v0
	ds_store_b64 v0, v[3:4] offset:12288
.LBB37_14:
	s_or_b32 exec_lo, exec_lo, s0
	s_waitcnt lgkmcnt(0)
	s_barrier
	buffer_gl0_inv
	s_and_saveexec_b32 s0, s2
	s_cbranch_execz .LBB37_16
; %bb.15:
	ds_load_b64 v[3:4], v9 offset:12288
	v_lshlrev_b64 v[0:1], 3, v[1:2]
	s_delay_alu instid0(VALU_DEP_1) | instskip(NEXT) | instid1(VALU_DEP_2)
	v_add_co_u32 v0, vcc_lo, s4, v0
	v_add_co_ci_u32_e32 v1, vcc_lo, s5, v1, vcc_lo
	s_waitcnt lgkmcnt(0)
	global_store_b64 v[0:1], v[3:4], off
.LBB37_16:
	s_nop 0
	s_sendmsg sendmsg(MSG_DEALLOC_VGPRS)
	s_endpgm
	.section	.rodata,"a",@progbits
	.p2align	6, 0x0
	.amdhsa_kernel _ZN9rocsparseL44gtsv_nopivot_strided_batch_pcr_shared_kernelILj512EdEEviiiPKT0_S3_S3_PS1_
		.amdhsa_group_segment_fixed_size 20480
		.amdhsa_private_segment_fixed_size 0
		.amdhsa_kernarg_size 48
		.amdhsa_user_sgpr_count 15
		.amdhsa_user_sgpr_dispatch_ptr 0
		.amdhsa_user_sgpr_queue_ptr 0
		.amdhsa_user_sgpr_kernarg_segment_ptr 1
		.amdhsa_user_sgpr_dispatch_id 0
		.amdhsa_user_sgpr_private_segment_size 0
		.amdhsa_wavefront_size32 1
		.amdhsa_uses_dynamic_stack 0
		.amdhsa_enable_private_segment 0
		.amdhsa_system_sgpr_workgroup_id_x 1
		.amdhsa_system_sgpr_workgroup_id_y 0
		.amdhsa_system_sgpr_workgroup_id_z 0
		.amdhsa_system_sgpr_workgroup_info 0
		.amdhsa_system_vgpr_workitem_id 0
		.amdhsa_next_free_vgpr 43
		.amdhsa_next_free_sgpr 16
		.amdhsa_reserve_vcc 1
		.amdhsa_float_round_mode_32 0
		.amdhsa_float_round_mode_16_64 0
		.amdhsa_float_denorm_mode_32 3
		.amdhsa_float_denorm_mode_16_64 3
		.amdhsa_dx10_clamp 1
		.amdhsa_ieee_mode 1
		.amdhsa_fp16_overflow 0
		.amdhsa_workgroup_processor_mode 1
		.amdhsa_memory_ordered 1
		.amdhsa_forward_progress 0
		.amdhsa_shared_vgpr_count 0
		.amdhsa_exception_fp_ieee_invalid_op 0
		.amdhsa_exception_fp_denorm_src 0
		.amdhsa_exception_fp_ieee_div_zero 0
		.amdhsa_exception_fp_ieee_overflow 0
		.amdhsa_exception_fp_ieee_underflow 0
		.amdhsa_exception_fp_ieee_inexact 0
		.amdhsa_exception_int_div_zero 0
	.end_amdhsa_kernel
	.section	.text._ZN9rocsparseL44gtsv_nopivot_strided_batch_pcr_shared_kernelILj512EdEEviiiPKT0_S3_S3_PS1_,"axG",@progbits,_ZN9rocsparseL44gtsv_nopivot_strided_batch_pcr_shared_kernelILj512EdEEviiiPKT0_S3_S3_PS1_,comdat
.Lfunc_end37:
	.size	_ZN9rocsparseL44gtsv_nopivot_strided_batch_pcr_shared_kernelILj512EdEEviiiPKT0_S3_S3_PS1_, .Lfunc_end37-_ZN9rocsparseL44gtsv_nopivot_strided_batch_pcr_shared_kernelILj512EdEEviiiPKT0_S3_S3_PS1_
                                        ; -- End function
	.section	.AMDGPU.csdata,"",@progbits
; Kernel info:
; codeLenInByte = 4520
; NumSgprs: 18
; NumVgprs: 43
; ScratchSize: 0
; MemoryBound: 0
; FloatMode: 240
; IeeeMode: 1
; LDSByteSize: 20480 bytes/workgroup (compile time only)
; SGPRBlocks: 2
; VGPRBlocks: 5
; NumSGPRsForWavesPerEU: 18
; NumVGPRsForWavesPerEU: 43
; Occupancy: 16
; WaveLimiterHint : 0
; COMPUTE_PGM_RSRC2:SCRATCH_EN: 0
; COMPUTE_PGM_RSRC2:USER_SGPR: 15
; COMPUTE_PGM_RSRC2:TRAP_HANDLER: 0
; COMPUTE_PGM_RSRC2:TGID_X_EN: 1
; COMPUTE_PGM_RSRC2:TGID_Y_EN: 0
; COMPUTE_PGM_RSRC2:TGID_Z_EN: 0
; COMPUTE_PGM_RSRC2:TIDIG_COMP_CNT: 0
	.section	.text._ZN9rocsparseL49gtsv_nopivot_strided_batch_pcr_pow2_stage1_kernelILj256EdEEviiiiPKT0_S3_S3_S3_PS1_S4_S4_S4_,"axG",@progbits,_ZN9rocsparseL49gtsv_nopivot_strided_batch_pcr_pow2_stage1_kernelILj256EdEEviiiiPKT0_S3_S3_S3_PS1_S4_S4_S4_,comdat
	.globl	_ZN9rocsparseL49gtsv_nopivot_strided_batch_pcr_pow2_stage1_kernelILj256EdEEviiiiPKT0_S3_S3_S3_PS1_S4_S4_S4_ ; -- Begin function _ZN9rocsparseL49gtsv_nopivot_strided_batch_pcr_pow2_stage1_kernelILj256EdEEviiiiPKT0_S3_S3_S3_PS1_S4_S4_S4_
	.p2align	8
	.type	_ZN9rocsparseL49gtsv_nopivot_strided_batch_pcr_pow2_stage1_kernelILj256EdEEviiiiPKT0_S3_S3_S3_PS1_S4_S4_S4_,@function
_ZN9rocsparseL49gtsv_nopivot_strided_batch_pcr_pow2_stage1_kernelILj256EdEEviiiiPKT0_S3_S3_S3_PS1_S4_S4_S4_: ; @_ZN9rocsparseL49gtsv_nopivot_strided_batch_pcr_pow2_stage1_kernelILj256EdEEviiiiPKT0_S3_S3_S3_PS1_S4_S4_S4_
; %bb.0:
	s_clause 0x3
	s_load_b64 s[8:9], s[0:1], 0x0
	s_load_b32 s12, s[0:1], 0xc
	s_load_b256 s[16:23], s[0:1], 0x30
	s_load_b256 s[0:7], s[0:1], 0x10
	v_lshl_or_b32 v0, s14, 8, v0
	v_mov_b32_e32 v3, 0
	s_delay_alu instid0(VALU_DEP_2) | instskip(NEXT) | instid1(VALU_DEP_1)
	v_ashrrev_i32_e32 v1, 31, v0
	v_lshlrev_b64 v[4:5], 3, v[0:1]
	s_waitcnt lgkmcnt(0)
	s_mul_i32 s10, s15, s9
	s_add_i32 s14, s9, -1
	s_ashr_i32 s11, s10, 31
	s_mul_i32 s12, s15, s12
	s_lshl_b64 s[10:11], s[10:11], 3
	v_subrev_nc_u32_e32 v2, s8, v0
	v_add_nc_u32_e32 v0, s8, v0
	s_add_u32 s15, s22, s10
	s_addc_u32 s22, s23, s11
	s_ashr_i32 s13, s12, 31
	v_max_i32_e32 v2, 0, v2
	s_lshl_b64 s[12:13], s[12:13], 3
	s_delay_alu instid0(SALU_CYCLE_1)
	s_add_u32 s6, s6, s12
	s_addc_u32 s7, s7, s13
	s_add_u32 s20, s20, s10
	s_addc_u32 s21, s21, s11
	s_add_u32 s4, s4, s12
	v_lshlrev_b64 v[1:2], 3, v[2:3]
	s_addc_u32 s5, s5, s13
	s_add_u32 s18, s18, s10
	s_addc_u32 s19, s19, s11
	s_add_u32 s2, s2, s12
	;; [unrolled: 2-line block ×3, first 2 shown]
	s_addc_u32 s11, s17, s11
	v_add_co_u32 v6, vcc_lo, s2, v1
	s_add_u32 s0, s0, s12
	v_add_co_ci_u32_e32 v7, vcc_lo, s3, v2, vcc_lo
	s_addc_u32 s1, s1, s13
	v_add_co_u32 v8, vcc_lo, s0, v4
	v_add_co_ci_u32_e32 v9, vcc_lo, s1, v5, vcc_lo
	global_load_b64 v[6:7], v[6:7], off
	global_load_b64 v[8:9], v[8:9], off
	v_cmp_gt_i32_e32 vcc_lo, s9, v0
	v_cndmask_b32_e32 v10, s14, v0, vcc_lo
	v_add_co_u32 v12, vcc_lo, s4, v4
	v_add_co_ci_u32_e32 v13, vcc_lo, s5, v5, vcc_lo
	s_delay_alu instid0(VALU_DEP_3) | instskip(NEXT) | instid1(VALU_DEP_1)
	v_ashrrev_i32_e32 v11, 31, v10
	v_lshlrev_b64 v[10:11], 3, v[10:11]
	s_delay_alu instid0(VALU_DEP_1) | instskip(NEXT) | instid1(VALU_DEP_2)
	v_add_co_u32 v14, vcc_lo, s2, v10
	v_add_co_ci_u32_e32 v15, vcc_lo, s3, v11, vcc_lo
	global_load_b64 v[12:13], v[12:13], off
	global_load_b64 v[14:15], v[14:15], off
	v_add_co_u32 v22, vcc_lo, s6, v4
	v_add_co_ci_u32_e32 v23, vcc_lo, s7, v5, vcc_lo
	v_add_co_u32 v24, vcc_lo, s4, v1
	v_add_co_ci_u32_e32 v25, vcc_lo, s5, v2, vcc_lo
	;; [unrolled: 2-line block ×4, first 2 shown]
	global_load_b64 v[22:23], v[22:23], off
	global_load_b64 v[24:25], v[24:25], off
	global_load_b64 v[26:27], v[26:27], off
	global_load_b64 v[28:29], v[28:29], off
	v_add_co_u32 v34, vcc_lo, s6, v10
	v_add_co_ci_u32_e32 v35, vcc_lo, s7, v11, vcc_lo
	v_add_co_u32 v36, vcc_lo, s0, v10
	v_add_co_ci_u32_e32 v37, vcc_lo, s1, v11, vcc_lo
	v_add_co_u32 v0, vcc_lo, s0, v1
	v_add_co_ci_u32_e32 v1, vcc_lo, s1, v2, vcc_lo
	v_add_co_u32 v2, vcc_lo, s4, v10
	v_add_co_ci_u32_e32 v3, vcc_lo, s5, v11, vcc_lo
	s_clause 0x1
	global_load_b64 v[0:1], v[0:1], off
	global_load_b64 v[10:11], v[36:37], off
	;; [unrolled: 1-line block ×4, first 2 shown]
	s_waitcnt vmcnt(10)
	v_div_scale_f64 v[16:17], null, v[6:7], v[6:7], v[8:9]
	v_div_scale_f64 v[38:39], vcc_lo, v[8:9], v[6:7], v[8:9]
	s_waitcnt vmcnt(8)
	v_div_scale_f64 v[18:19], null, v[14:15], v[14:15], v[12:13]
	s_delay_alu instid0(VALU_DEP_3) | instskip(NEXT) | instid1(VALU_DEP_1)
	v_rcp_f64_e32 v[20:21], v[16:17]
	v_rcp_f64_e32 v[30:31], v[18:19]
	s_waitcnt_depctr 0xfff
	v_fma_f64 v[32:33], -v[16:17], v[20:21], 1.0
	v_fma_f64 v[36:37], -v[18:19], v[30:31], 1.0
	s_delay_alu instid0(VALU_DEP_2) | instskip(NEXT) | instid1(VALU_DEP_2)
	v_fma_f64 v[20:21], v[20:21], v[32:33], v[20:21]
	v_fma_f64 v[30:31], v[30:31], v[36:37], v[30:31]
	s_delay_alu instid0(VALU_DEP_2) | instskip(NEXT) | instid1(VALU_DEP_2)
	v_fma_f64 v[32:33], -v[16:17], v[20:21], 1.0
	v_fma_f64 v[36:37], -v[18:19], v[30:31], 1.0
	s_delay_alu instid0(VALU_DEP_2) | instskip(SKIP_1) | instid1(VALU_DEP_3)
	v_fma_f64 v[20:21], v[20:21], v[32:33], v[20:21]
	v_div_scale_f64 v[32:33], s0, v[12:13], v[14:15], v[12:13]
	v_fma_f64 v[30:31], v[30:31], v[36:37], v[30:31]
	s_delay_alu instid0(VALU_DEP_3) | instskip(NEXT) | instid1(VALU_DEP_2)
	v_mul_f64 v[36:37], v[38:39], v[20:21]
	v_mul_f64 v[40:41], v[32:33], v[30:31]
	s_delay_alu instid0(VALU_DEP_2) | instskip(NEXT) | instid1(VALU_DEP_2)
	v_fma_f64 v[16:17], -v[16:17], v[36:37], v[38:39]
	v_fma_f64 v[18:19], -v[18:19], v[40:41], v[32:33]
	s_delay_alu instid0(VALU_DEP_2) | instskip(SKIP_1) | instid1(VALU_DEP_2)
	v_div_fmas_f64 v[16:17], v[16:17], v[20:21], v[36:37]
	s_mov_b32 vcc_lo, s0
	v_div_fmas_f64 v[18:19], v[18:19], v[30:31], v[40:41]
	s_delay_alu instid0(VALU_DEP_2) | instskip(NEXT) | instid1(VALU_DEP_2)
	v_div_fixup_f64 v[6:7], v[16:17], v[6:7], v[8:9]
	v_div_fixup_f64 v[8:9], v[18:19], v[14:15], v[12:13]
	s_waitcnt vmcnt(5)
	s_delay_alu instid0(VALU_DEP_2)
	v_fma_f64 v[12:13], -v[6:7], v[24:25], v[26:27]
	s_waitcnt vmcnt(4)
	v_fma_f64 v[14:15], -v[6:7], v[28:29], v[22:23]
	s_waitcnt vmcnt(3)
	v_mul_f64 v[0:1], v[6:7], -v[0:1]
	s_waitcnt vmcnt(0)
	s_delay_alu instid0(VALU_DEP_4) | instskip(NEXT) | instid1(VALU_DEP_4)
	v_mul_f64 v[2:3], v[8:9], -v[2:3]
	v_fma_f64 v[6:7], -v[8:9], v[10:11], v[12:13]
	s_delay_alu instid0(VALU_DEP_4)
	v_fma_f64 v[10:11], -v[34:35], v[8:9], v[14:15]
	v_add_co_u32 v8, vcc_lo, s15, v4
	v_add_co_ci_u32_e32 v9, vcc_lo, s22, v5, vcc_lo
	v_add_co_u32 v12, vcc_lo, s18, v4
	v_add_co_ci_u32_e32 v13, vcc_lo, s19, v5, vcc_lo
	;; [unrolled: 2-line block ×4, first 2 shown]
	global_store_b64 v[14:15], v[0:1], off
	global_store_b64 v[12:13], v[6:7], off
	;; [unrolled: 1-line block ×4, first 2 shown]
	s_nop 0
	s_sendmsg sendmsg(MSG_DEALLOC_VGPRS)
	s_endpgm
	.section	.rodata,"a",@progbits
	.p2align	6, 0x0
	.amdhsa_kernel _ZN9rocsparseL49gtsv_nopivot_strided_batch_pcr_pow2_stage1_kernelILj256EdEEviiiiPKT0_S3_S3_S3_PS1_S4_S4_S4_
		.amdhsa_group_segment_fixed_size 0
		.amdhsa_private_segment_fixed_size 0
		.amdhsa_kernarg_size 80
		.amdhsa_user_sgpr_count 14
		.amdhsa_user_sgpr_dispatch_ptr 0
		.amdhsa_user_sgpr_queue_ptr 0
		.amdhsa_user_sgpr_kernarg_segment_ptr 1
		.amdhsa_user_sgpr_dispatch_id 0
		.amdhsa_user_sgpr_private_segment_size 0
		.amdhsa_wavefront_size32 1
		.amdhsa_uses_dynamic_stack 0
		.amdhsa_enable_private_segment 0
		.amdhsa_system_sgpr_workgroup_id_x 1
		.amdhsa_system_sgpr_workgroup_id_y 1
		.amdhsa_system_sgpr_workgroup_id_z 0
		.amdhsa_system_sgpr_workgroup_info 0
		.amdhsa_system_vgpr_workitem_id 0
		.amdhsa_next_free_vgpr 42
		.amdhsa_next_free_sgpr 24
		.amdhsa_reserve_vcc 1
		.amdhsa_float_round_mode_32 0
		.amdhsa_float_round_mode_16_64 0
		.amdhsa_float_denorm_mode_32 3
		.amdhsa_float_denorm_mode_16_64 3
		.amdhsa_dx10_clamp 1
		.amdhsa_ieee_mode 1
		.amdhsa_fp16_overflow 0
		.amdhsa_workgroup_processor_mode 1
		.amdhsa_memory_ordered 1
		.amdhsa_forward_progress 0
		.amdhsa_shared_vgpr_count 0
		.amdhsa_exception_fp_ieee_invalid_op 0
		.amdhsa_exception_fp_denorm_src 0
		.amdhsa_exception_fp_ieee_div_zero 0
		.amdhsa_exception_fp_ieee_overflow 0
		.amdhsa_exception_fp_ieee_underflow 0
		.amdhsa_exception_fp_ieee_inexact 0
		.amdhsa_exception_int_div_zero 0
	.end_amdhsa_kernel
	.section	.text._ZN9rocsparseL49gtsv_nopivot_strided_batch_pcr_pow2_stage1_kernelILj256EdEEviiiiPKT0_S3_S3_S3_PS1_S4_S4_S4_,"axG",@progbits,_ZN9rocsparseL49gtsv_nopivot_strided_batch_pcr_pow2_stage1_kernelILj256EdEEviiiiPKT0_S3_S3_S3_PS1_S4_S4_S4_,comdat
.Lfunc_end38:
	.size	_ZN9rocsparseL49gtsv_nopivot_strided_batch_pcr_pow2_stage1_kernelILj256EdEEviiiiPKT0_S3_S3_S3_PS1_S4_S4_S4_, .Lfunc_end38-_ZN9rocsparseL49gtsv_nopivot_strided_batch_pcr_pow2_stage1_kernelILj256EdEEviiiiPKT0_S3_S3_S3_PS1_S4_S4_S4_
                                        ; -- End function
	.section	.AMDGPU.csdata,"",@progbits
; Kernel info:
; codeLenInByte = 840
; NumSgprs: 26
; NumVgprs: 42
; ScratchSize: 0
; MemoryBound: 0
; FloatMode: 240
; IeeeMode: 1
; LDSByteSize: 0 bytes/workgroup (compile time only)
; SGPRBlocks: 3
; VGPRBlocks: 5
; NumSGPRsForWavesPerEU: 26
; NumVGPRsForWavesPerEU: 42
; Occupancy: 16
; WaveLimiterHint : 0
; COMPUTE_PGM_RSRC2:SCRATCH_EN: 0
; COMPUTE_PGM_RSRC2:USER_SGPR: 14
; COMPUTE_PGM_RSRC2:TRAP_HANDLER: 0
; COMPUTE_PGM_RSRC2:TGID_X_EN: 1
; COMPUTE_PGM_RSRC2:TGID_Y_EN: 1
; COMPUTE_PGM_RSRC2:TGID_Z_EN: 0
; COMPUTE_PGM_RSRC2:TIDIG_COMP_CNT: 0
	.section	.text._ZN9rocsparseL48gtsv_nopivot_strided_batch_cr_pow2_stage2_kernelILj256EdEEviiiPKT0_S3_S3_S3_PS1_,"axG",@progbits,_ZN9rocsparseL48gtsv_nopivot_strided_batch_cr_pow2_stage2_kernelILj256EdEEviiiPKT0_S3_S3_S3_PS1_,comdat
	.globl	_ZN9rocsparseL48gtsv_nopivot_strided_batch_cr_pow2_stage2_kernelILj256EdEEviiiPKT0_S3_S3_S3_PS1_ ; -- Begin function _ZN9rocsparseL48gtsv_nopivot_strided_batch_cr_pow2_stage2_kernelILj256EdEEviiiPKT0_S3_S3_S3_PS1_
	.p2align	8
	.type	_ZN9rocsparseL48gtsv_nopivot_strided_batch_cr_pow2_stage2_kernelILj256EdEEviiiPKT0_S3_S3_S3_PS1_,@function
_ZN9rocsparseL48gtsv_nopivot_strided_batch_cr_pow2_stage2_kernelILj256EdEEviiiPKT0_S3_S3_S3_PS1_: ; @_ZN9rocsparseL48gtsv_nopivot_strided_batch_cr_pow2_stage2_kernelILj256EdEEviiiPKT0_S3_S3_S3_PS1_
; %bb.0:
	s_clause 0x2
	s_load_b32 s2, s[0:1], 0x38
	s_load_b32 s3, s[0:1], 0x0
	s_load_b256 s[4:11], s[0:1], 0x10
	s_waitcnt lgkmcnt(0)
	v_mad_u64_u32 v[1:2], null, s2, v0, s[14:15]
	s_mul_i32 s3, s15, s3
	s_delay_alu instid0(VALU_DEP_1) | instid1(SALU_CYCLE_1)
	v_dual_mov_b32 v3, 0 :: v_dual_add_nc_u32 v2, s3, v1
	v_lshl_add_u32 v4, s2, 8, v1
	s_mov_b32 s2, 0
	s_delay_alu instid0(VALU_DEP_2) | instskip(NEXT) | instid1(VALU_DEP_2)
	v_lshlrev_b64 v[5:6], 3, v[2:3]
	v_add_nc_u32_e32 v2, s3, v4
	s_mov_b32 s3, s2
	s_delay_alu instid0(SALU_CYCLE_1) | instskip(NEXT) | instid1(VALU_DEP_3)
	v_dual_mov_b32 v24, s3 :: v_dual_mov_b32 v23, s2
	v_add_co_u32 v7, vcc_lo, s4, v5
	s_delay_alu instid0(VALU_DEP_4)
	v_add_co_ci_u32_e32 v8, vcc_lo, s5, v6, vcc_lo
	v_add_co_u32 v9, vcc_lo, s6, v5
	v_add_co_ci_u32_e32 v10, vcc_lo, s7, v6, vcc_lo
	v_lshlrev_b64 v[2:3], 3, v[2:3]
	v_add_co_u32 v11, vcc_lo, s8, v5
	v_add_co_ci_u32_e32 v12, vcc_lo, s9, v6, vcc_lo
	v_add_co_u32 v5, vcc_lo, s10, v5
	v_add_co_ci_u32_e32 v6, vcc_lo, s11, v6, vcc_lo
	;; [unrolled: 2-line block ×6, first 2 shown]
	global_load_b64 v[7:8], v[7:8], off
	global_load_b64 v[9:10], v[9:10], off
	;; [unrolled: 1-line block ×8, first 2 shown]
	v_lshlrev_b32_e32 v5, 3, v0
	v_add_nc_u32_e32 v2, 1, v0
	v_cmp_gt_u32_e64 s2, 0x100, v0
	ds_store_2addr_stride64_b64 v5, v[23:24], v[23:24] offset0:24 offset1:28
	s_waitcnt vmcnt(3)
	ds_store_2addr_stride64_b64 v5, v[7:8], v[13:14] offset1:4
	s_waitcnt vmcnt(2)
	ds_store_2addr_stride64_b64 v5, v[9:10], v[15:16] offset0:8 offset1:12
	s_waitcnt vmcnt(1)
	ds_store_2addr_stride64_b64 v5, v[11:12], v[17:18] offset0:16 offset1:20
	;; [unrolled: 2-line block ×3, first 2 shown]
	s_waitcnt lgkmcnt(0)
	s_barrier
	buffer_gl0_inv
	s_and_saveexec_b32 s4, s2
	s_cbranch_execz .LBB39_2
; %bb.1:
	v_lshlrev_b32_e32 v3, 4, v2
	v_lshlrev_b32_e32 v22, 1, v2
	s_delay_alu instid0(VALU_DEP_2) | instskip(NEXT) | instid1(VALU_DEP_2)
	v_add_nc_u32_e32 v6, -16, v3
	v_min_u32_e32 v22, 0x1ff, v22
	ds_load_b128 v[6:9], v6
	ds_load_b128 v[10:13], v3 offset:4080
	ds_load_b128 v[14:17], v3 offset:8176
	;; [unrolled: 1-line block ×3, first 2 shown]
	v_lshlrev_b32_e32 v42, 3, v22
	ds_load_2addr_stride64_b64 v[22:25], v42 offset1:8
	s_waitcnt lgkmcnt(3)
	v_div_scale_f64 v[26:27], null, v[10:11], v[10:11], v[8:9]
	v_div_scale_f64 v[38:39], vcc_lo, v[8:9], v[10:11], v[8:9]
	s_waitcnt lgkmcnt(0)
	v_div_scale_f64 v[28:29], null, v[24:25], v[24:25], v[16:17]
	s_delay_alu instid0(VALU_DEP_3) | instskip(NEXT) | instid1(VALU_DEP_1)
	v_rcp_f64_e32 v[30:31], v[26:27]
	v_rcp_f64_e32 v[32:33], v[28:29]
	s_waitcnt_depctr 0xfff
	v_fma_f64 v[34:35], -v[26:27], v[30:31], 1.0
	v_fma_f64 v[36:37], -v[28:29], v[32:33], 1.0
	s_delay_alu instid0(VALU_DEP_2) | instskip(NEXT) | instid1(VALU_DEP_2)
	v_fma_f64 v[30:31], v[30:31], v[34:35], v[30:31]
	v_fma_f64 v[32:33], v[32:33], v[36:37], v[32:33]
	s_delay_alu instid0(VALU_DEP_2) | instskip(NEXT) | instid1(VALU_DEP_2)
	v_fma_f64 v[34:35], -v[26:27], v[30:31], 1.0
	v_fma_f64 v[36:37], -v[28:29], v[32:33], 1.0
	s_delay_alu instid0(VALU_DEP_2) | instskip(SKIP_1) | instid1(VALU_DEP_3)
	v_fma_f64 v[30:31], v[30:31], v[34:35], v[30:31]
	v_div_scale_f64 v[34:35], s3, v[16:17], v[24:25], v[16:17]
	v_fma_f64 v[32:33], v[32:33], v[36:37], v[32:33]
	s_delay_alu instid0(VALU_DEP_3) | instskip(NEXT) | instid1(VALU_DEP_2)
	v_mul_f64 v[36:37], v[38:39], v[30:31]
	v_mul_f64 v[40:41], v[34:35], v[32:33]
	s_delay_alu instid0(VALU_DEP_2) | instskip(NEXT) | instid1(VALU_DEP_2)
	v_fma_f64 v[26:27], -v[26:27], v[36:37], v[38:39]
	v_fma_f64 v[28:29], -v[28:29], v[40:41], v[34:35]
	s_delay_alu instid0(VALU_DEP_2) | instskip(SKIP_1) | instid1(VALU_DEP_2)
	v_div_fmas_f64 v[26:27], v[26:27], v[30:31], v[36:37]
	s_mov_b32 vcc_lo, s3
	v_div_fmas_f64 v[28:29], v[28:29], v[32:33], v[40:41]
	s_delay_alu instid0(VALU_DEP_2)
	v_div_fixup_f64 v[26:27], v[26:27], v[10:11], v[8:9]
	ds_load_2addr_stride64_b64 v[8:11], v42 offset0:16 offset1:32
	v_div_fixup_f64 v[16:17], v[28:29], v[24:25], v[16:17]
	v_fma_f64 v[18:19], -v[26:27], v[18:19], v[20:21]
	v_fma_f64 v[12:13], -v[26:27], v[14:15], v[12:13]
	v_mul_f64 v[6:7], v[26:27], -v[6:7]
	v_add_nc_u32_e32 v14, -8, v3
	v_add_nc_u32_e32 v15, 0x1f8, v3
	s_waitcnt lgkmcnt(0)
	v_mul_f64 v[8:9], v[16:17], -v[8:9]
	v_fma_f64 v[10:11], -v[16:17], v[10:11], v[18:19]
	v_fma_f64 v[12:13], -v[16:17], v[22:23], v[12:13]
	ds_store_b64 v3, v[10:11] offset:16376
	ds_store_b64 v14, v[6:7]
	ds_store_2addr_stride64_b64 v15, v[12:13], v[8:9] offset0:7 offset1:15
.LBB39_2:
	s_or_b32 exec_lo, exec_lo, s4
	v_cmp_gt_u32_e64 s3, 0x80, v0
	s_waitcnt lgkmcnt(0)
	s_barrier
	buffer_gl0_inv
	s_and_saveexec_b32 s5, s3
	s_cbranch_execz .LBB39_4
; %bb.3:
	v_lshlrev_b32_e32 v3, 5, v2
	s_delay_alu instid0(VALU_DEP_1)
	v_add_nc_u32_e32 v6, 0x800, v3
	v_add_nc_u32_e32 v38, -8, v3
	v_subrev_nc_u32_e32 v10, 24, v3
	v_add_nc_u32_e32 v11, 0x1800, v3
	ds_load_2addr_b64 v[6:9], v6 offset0:253 offset1:255
	ds_load_b64 v[18:19], v38
	ds_load_b64 v[22:23], v10
	v_lshl_or_b32 v10, v2, 2, 1
	s_delay_alu instid0(VALU_DEP_1) | instskip(NEXT) | instid1(VALU_DEP_1)
	v_min_u32_e32 v10, 0x1ff, v10
	v_lshlrev_b32_e32 v39, 3, v10
	ds_load_2addr_b64 v[10:13], v11 offset0:253 offset1:255
	ds_load_2addr_stride64_b64 v[14:17], v39 offset1:8
	s_waitcnt lgkmcnt(3)
	v_div_scale_f64 v[20:21], null, v[6:7], v[6:7], v[18:19]
	v_div_scale_f64 v[34:35], vcc_lo, v[18:19], v[6:7], v[18:19]
	s_waitcnt lgkmcnt(0)
	v_div_scale_f64 v[24:25], null, v[16:17], v[16:17], v[12:13]
	s_delay_alu instid0(VALU_DEP_3) | instskip(NEXT) | instid1(VALU_DEP_1)
	v_rcp_f64_e32 v[26:27], v[20:21]
	v_rcp_f64_e32 v[28:29], v[24:25]
	s_waitcnt_depctr 0xfff
	v_fma_f64 v[30:31], -v[20:21], v[26:27], 1.0
	v_fma_f64 v[32:33], -v[24:25], v[28:29], 1.0
	s_delay_alu instid0(VALU_DEP_2) | instskip(NEXT) | instid1(VALU_DEP_2)
	v_fma_f64 v[26:27], v[26:27], v[30:31], v[26:27]
	v_fma_f64 v[28:29], v[28:29], v[32:33], v[28:29]
	s_delay_alu instid0(VALU_DEP_2) | instskip(NEXT) | instid1(VALU_DEP_2)
	v_fma_f64 v[30:31], -v[20:21], v[26:27], 1.0
	v_fma_f64 v[32:33], -v[24:25], v[28:29], 1.0
	s_delay_alu instid0(VALU_DEP_2) | instskip(SKIP_1) | instid1(VALU_DEP_3)
	v_fma_f64 v[26:27], v[26:27], v[30:31], v[26:27]
	v_div_scale_f64 v[30:31], s4, v[12:13], v[16:17], v[12:13]
	v_fma_f64 v[28:29], v[28:29], v[32:33], v[28:29]
	s_delay_alu instid0(VALU_DEP_3) | instskip(NEXT) | instid1(VALU_DEP_2)
	v_mul_f64 v[32:33], v[34:35], v[26:27]
	v_mul_f64 v[36:37], v[30:31], v[28:29]
	s_delay_alu instid0(VALU_DEP_2) | instskip(NEXT) | instid1(VALU_DEP_2)
	v_fma_f64 v[20:21], -v[20:21], v[32:33], v[34:35]
	v_fma_f64 v[24:25], -v[24:25], v[36:37], v[30:31]
	s_delay_alu instid0(VALU_DEP_2) | instskip(SKIP_1) | instid1(VALU_DEP_2)
	v_div_fmas_f64 v[20:21], v[20:21], v[26:27], v[32:33]
	s_mov_b32 vcc_lo, s4
	v_div_fmas_f64 v[24:25], v[24:25], v[28:29], v[36:37]
	s_delay_alu instid0(VALU_DEP_2)
	v_div_fixup_f64 v[26:27], v[20:21], v[6:7], v[18:19]
	v_add_nc_u32_e32 v6, 0x3800, v3
	ds_load_2addr_b64 v[18:21], v6 offset0:253 offset1:255
	v_div_fixup_f64 v[12:13], v[24:25], v[16:17], v[12:13]
	s_waitcnt lgkmcnt(0)
	v_fma_f64 v[16:17], -v[26:27], v[18:19], v[20:21]
	v_fma_f64 v[10:11], -v[26:27], v[10:11], v[8:9]
	ds_load_2addr_stride64_b64 v[6:9], v39 offset0:16 offset1:32
	v_mul_f64 v[18:19], v[26:27], -v[22:23]
	s_waitcnt lgkmcnt(0)
	v_mul_f64 v[6:7], v[12:13], -v[6:7]
	v_fma_f64 v[8:9], -v[12:13], v[8:9], v[16:17]
	v_fma_f64 v[10:11], -v[12:13], v[14:15], v[10:11]
	v_add_nc_u32_e32 v12, 0x1f8, v3
	ds_store_b64 v3, v[8:9] offset:16376
	ds_store_b64 v38, v[18:19]
	ds_store_2addr_stride64_b64 v12, v[10:11], v[6:7] offset0:7 offset1:15
.LBB39_4:
	s_or_b32 exec_lo, exec_lo, s5
	v_cmp_gt_u32_e64 s4, 64, v0
	s_waitcnt lgkmcnt(0)
	s_barrier
	buffer_gl0_inv
	s_and_saveexec_b32 s6, s4
	s_cbranch_execz .LBB39_6
; %bb.5:
	v_lshlrev_b32_e32 v3, 6, v2
	s_delay_alu instid0(VALU_DEP_1)
	v_add_nc_u32_e32 v6, 0x800, v3
	v_add_nc_u32_e32 v38, -8, v3
	v_subrev_nc_u32_e32 v10, 40, v3
	v_add_nc_u32_e32 v11, 0x1800, v3
	ds_load_2addr_b64 v[6:9], v6 offset0:251 offset1:255
	ds_load_b64 v[18:19], v38
	ds_load_b64 v[22:23], v10
	v_lshl_or_b32 v10, v2, 3, 3
	s_delay_alu instid0(VALU_DEP_1) | instskip(NEXT) | instid1(VALU_DEP_1)
	v_min_u32_e32 v10, 0x1ff, v10
	v_lshlrev_b32_e32 v39, 3, v10
	ds_load_2addr_b64 v[10:13], v11 offset0:251 offset1:255
	ds_load_2addr_stride64_b64 v[14:17], v39 offset1:8
	s_waitcnt lgkmcnt(3)
	v_div_scale_f64 v[20:21], null, v[6:7], v[6:7], v[18:19]
	v_div_scale_f64 v[34:35], vcc_lo, v[18:19], v[6:7], v[18:19]
	s_waitcnt lgkmcnt(0)
	v_div_scale_f64 v[24:25], null, v[16:17], v[16:17], v[12:13]
	s_delay_alu instid0(VALU_DEP_3) | instskip(NEXT) | instid1(VALU_DEP_1)
	v_rcp_f64_e32 v[26:27], v[20:21]
	v_rcp_f64_e32 v[28:29], v[24:25]
	s_waitcnt_depctr 0xfff
	v_fma_f64 v[30:31], -v[20:21], v[26:27], 1.0
	v_fma_f64 v[32:33], -v[24:25], v[28:29], 1.0
	s_delay_alu instid0(VALU_DEP_2) | instskip(NEXT) | instid1(VALU_DEP_2)
	v_fma_f64 v[26:27], v[26:27], v[30:31], v[26:27]
	v_fma_f64 v[28:29], v[28:29], v[32:33], v[28:29]
	s_delay_alu instid0(VALU_DEP_2) | instskip(NEXT) | instid1(VALU_DEP_2)
	v_fma_f64 v[30:31], -v[20:21], v[26:27], 1.0
	v_fma_f64 v[32:33], -v[24:25], v[28:29], 1.0
	s_delay_alu instid0(VALU_DEP_2) | instskip(SKIP_1) | instid1(VALU_DEP_3)
	v_fma_f64 v[26:27], v[26:27], v[30:31], v[26:27]
	v_div_scale_f64 v[30:31], s5, v[12:13], v[16:17], v[12:13]
	v_fma_f64 v[28:29], v[28:29], v[32:33], v[28:29]
	s_delay_alu instid0(VALU_DEP_3) | instskip(NEXT) | instid1(VALU_DEP_2)
	v_mul_f64 v[32:33], v[34:35], v[26:27]
	v_mul_f64 v[36:37], v[30:31], v[28:29]
	s_delay_alu instid0(VALU_DEP_2) | instskip(NEXT) | instid1(VALU_DEP_2)
	v_fma_f64 v[20:21], -v[20:21], v[32:33], v[34:35]
	v_fma_f64 v[24:25], -v[24:25], v[36:37], v[30:31]
	s_delay_alu instid0(VALU_DEP_2) | instskip(SKIP_1) | instid1(VALU_DEP_2)
	v_div_fmas_f64 v[20:21], v[20:21], v[26:27], v[32:33]
	s_mov_b32 vcc_lo, s5
	v_div_fmas_f64 v[24:25], v[24:25], v[28:29], v[36:37]
	s_delay_alu instid0(VALU_DEP_2)
	v_div_fixup_f64 v[26:27], v[20:21], v[6:7], v[18:19]
	v_add_nc_u32_e32 v6, 0x3800, v3
	ds_load_2addr_b64 v[18:21], v6 offset0:251 offset1:255
	v_div_fixup_f64 v[12:13], v[24:25], v[16:17], v[12:13]
	s_waitcnt lgkmcnt(0)
	v_fma_f64 v[16:17], -v[26:27], v[18:19], v[20:21]
	v_fma_f64 v[10:11], -v[26:27], v[10:11], v[8:9]
	ds_load_2addr_stride64_b64 v[6:9], v39 offset0:16 offset1:32
	v_mul_f64 v[18:19], v[26:27], -v[22:23]
	s_waitcnt lgkmcnt(0)
	v_mul_f64 v[6:7], v[12:13], -v[6:7]
	v_fma_f64 v[8:9], -v[12:13], v[8:9], v[16:17]
	v_fma_f64 v[10:11], -v[12:13], v[14:15], v[10:11]
	v_add_nc_u32_e32 v12, 0x1f8, v3
	ds_store_b64 v3, v[8:9] offset:16376
	ds_store_b64 v38, v[18:19]
	ds_store_2addr_stride64_b64 v12, v[10:11], v[6:7] offset0:7 offset1:15
.LBB39_6:
	s_or_b32 exec_lo, exec_lo, s6
	v_cmp_gt_u32_e64 s5, 32, v0
	s_waitcnt lgkmcnt(0)
	s_barrier
	buffer_gl0_inv
	s_and_saveexec_b32 s7, s5
	s_cbranch_execz .LBB39_8
; %bb.7:
	v_lshlrev_b32_e32 v3, 7, v2
	s_delay_alu instid0(VALU_DEP_1)
	v_add_nc_u32_e32 v6, 0x800, v3
	v_add_nc_u32_e32 v38, -8, v3
	v_add_nc_u32_e32 v10, 0xffffffb8, v3
	v_add_nc_u32_e32 v11, 0x1800, v3
	ds_load_2addr_b64 v[6:9], v6 offset0:247 offset1:255
	ds_load_b64 v[18:19], v38
	ds_load_b64 v[22:23], v10
	v_lshl_or_b32 v10, v2, 4, 7
	s_delay_alu instid0(VALU_DEP_1) | instskip(NEXT) | instid1(VALU_DEP_1)
	v_min_u32_e32 v10, 0x1ff, v10
	v_lshlrev_b32_e32 v39, 3, v10
	ds_load_2addr_b64 v[10:13], v11 offset0:247 offset1:255
	ds_load_2addr_stride64_b64 v[14:17], v39 offset1:8
	s_waitcnt lgkmcnt(3)
	v_div_scale_f64 v[20:21], null, v[6:7], v[6:7], v[18:19]
	v_div_scale_f64 v[34:35], vcc_lo, v[18:19], v[6:7], v[18:19]
	s_waitcnt lgkmcnt(0)
	v_div_scale_f64 v[24:25], null, v[16:17], v[16:17], v[12:13]
	s_delay_alu instid0(VALU_DEP_3) | instskip(NEXT) | instid1(VALU_DEP_1)
	v_rcp_f64_e32 v[26:27], v[20:21]
	v_rcp_f64_e32 v[28:29], v[24:25]
	s_waitcnt_depctr 0xfff
	v_fma_f64 v[30:31], -v[20:21], v[26:27], 1.0
	v_fma_f64 v[32:33], -v[24:25], v[28:29], 1.0
	s_delay_alu instid0(VALU_DEP_2) | instskip(NEXT) | instid1(VALU_DEP_2)
	v_fma_f64 v[26:27], v[26:27], v[30:31], v[26:27]
	v_fma_f64 v[28:29], v[28:29], v[32:33], v[28:29]
	s_delay_alu instid0(VALU_DEP_2) | instskip(NEXT) | instid1(VALU_DEP_2)
	v_fma_f64 v[30:31], -v[20:21], v[26:27], 1.0
	v_fma_f64 v[32:33], -v[24:25], v[28:29], 1.0
	s_delay_alu instid0(VALU_DEP_2) | instskip(SKIP_1) | instid1(VALU_DEP_3)
	v_fma_f64 v[26:27], v[26:27], v[30:31], v[26:27]
	v_div_scale_f64 v[30:31], s6, v[12:13], v[16:17], v[12:13]
	v_fma_f64 v[28:29], v[28:29], v[32:33], v[28:29]
	s_delay_alu instid0(VALU_DEP_3) | instskip(NEXT) | instid1(VALU_DEP_2)
	v_mul_f64 v[32:33], v[34:35], v[26:27]
	v_mul_f64 v[36:37], v[30:31], v[28:29]
	s_delay_alu instid0(VALU_DEP_2) | instskip(NEXT) | instid1(VALU_DEP_2)
	v_fma_f64 v[20:21], -v[20:21], v[32:33], v[34:35]
	v_fma_f64 v[24:25], -v[24:25], v[36:37], v[30:31]
	s_delay_alu instid0(VALU_DEP_2) | instskip(SKIP_1) | instid1(VALU_DEP_2)
	v_div_fmas_f64 v[20:21], v[20:21], v[26:27], v[32:33]
	s_mov_b32 vcc_lo, s6
	v_div_fmas_f64 v[24:25], v[24:25], v[28:29], v[36:37]
	s_delay_alu instid0(VALU_DEP_2)
	v_div_fixup_f64 v[26:27], v[20:21], v[6:7], v[18:19]
	v_add_nc_u32_e32 v6, 0x3800, v3
	ds_load_2addr_b64 v[18:21], v6 offset0:247 offset1:255
	v_div_fixup_f64 v[12:13], v[24:25], v[16:17], v[12:13]
	s_waitcnt lgkmcnt(0)
	v_fma_f64 v[16:17], -v[26:27], v[18:19], v[20:21]
	v_fma_f64 v[10:11], -v[26:27], v[10:11], v[8:9]
	ds_load_2addr_stride64_b64 v[6:9], v39 offset0:16 offset1:32
	v_mul_f64 v[18:19], v[26:27], -v[22:23]
	s_waitcnt lgkmcnt(0)
	v_mul_f64 v[6:7], v[12:13], -v[6:7]
	v_fma_f64 v[8:9], -v[12:13], v[8:9], v[16:17]
	v_fma_f64 v[10:11], -v[12:13], v[14:15], v[10:11]
	v_add_nc_u32_e32 v12, 0x1f8, v3
	ds_store_b64 v3, v[8:9] offset:16376
	ds_store_b64 v38, v[18:19]
	ds_store_2addr_stride64_b64 v12, v[10:11], v[6:7] offset0:7 offset1:15
.LBB39_8:
	s_or_b32 exec_lo, exec_lo, s7
	v_cmp_gt_u32_e64 s6, 16, v0
	s_waitcnt lgkmcnt(0)
	s_barrier
	buffer_gl0_inv
	s_and_saveexec_b32 s8, s6
	s_cbranch_execz .LBB39_10
; %bb.9:
	v_lshlrev_b32_e32 v3, 8, v2
	s_delay_alu instid0(VALU_DEP_1)
	v_add_nc_u32_e32 v6, 0x800, v3
	v_add_nc_u32_e32 v38, -8, v3
	v_add_nc_u32_e32 v10, 0xffffff78, v3
	v_add_nc_u32_e32 v11, 0x1800, v3
	ds_load_2addr_b64 v[6:9], v6 offset0:239 offset1:255
	ds_load_b64 v[18:19], v38
	ds_load_b64 v[22:23], v10
	v_lshl_or_b32 v10, v2, 5, 15
	s_delay_alu instid0(VALU_DEP_1) | instskip(NEXT) | instid1(VALU_DEP_1)
	v_min_u32_e32 v10, 0x1ff, v10
	v_lshlrev_b32_e32 v39, 3, v10
	ds_load_2addr_b64 v[10:13], v11 offset0:239 offset1:255
	ds_load_2addr_stride64_b64 v[14:17], v39 offset1:8
	s_waitcnt lgkmcnt(3)
	v_div_scale_f64 v[20:21], null, v[6:7], v[6:7], v[18:19]
	v_div_scale_f64 v[34:35], vcc_lo, v[18:19], v[6:7], v[18:19]
	s_waitcnt lgkmcnt(0)
	v_div_scale_f64 v[24:25], null, v[16:17], v[16:17], v[12:13]
	s_delay_alu instid0(VALU_DEP_3) | instskip(NEXT) | instid1(VALU_DEP_1)
	v_rcp_f64_e32 v[26:27], v[20:21]
	v_rcp_f64_e32 v[28:29], v[24:25]
	s_waitcnt_depctr 0xfff
	v_fma_f64 v[30:31], -v[20:21], v[26:27], 1.0
	v_fma_f64 v[32:33], -v[24:25], v[28:29], 1.0
	s_delay_alu instid0(VALU_DEP_2) | instskip(NEXT) | instid1(VALU_DEP_2)
	v_fma_f64 v[26:27], v[26:27], v[30:31], v[26:27]
	v_fma_f64 v[28:29], v[28:29], v[32:33], v[28:29]
	s_delay_alu instid0(VALU_DEP_2) | instskip(NEXT) | instid1(VALU_DEP_2)
	v_fma_f64 v[30:31], -v[20:21], v[26:27], 1.0
	v_fma_f64 v[32:33], -v[24:25], v[28:29], 1.0
	s_delay_alu instid0(VALU_DEP_2) | instskip(SKIP_1) | instid1(VALU_DEP_3)
	v_fma_f64 v[26:27], v[26:27], v[30:31], v[26:27]
	v_div_scale_f64 v[30:31], s7, v[12:13], v[16:17], v[12:13]
	v_fma_f64 v[28:29], v[28:29], v[32:33], v[28:29]
	s_delay_alu instid0(VALU_DEP_3) | instskip(NEXT) | instid1(VALU_DEP_2)
	v_mul_f64 v[32:33], v[34:35], v[26:27]
	v_mul_f64 v[36:37], v[30:31], v[28:29]
	s_delay_alu instid0(VALU_DEP_2) | instskip(NEXT) | instid1(VALU_DEP_2)
	v_fma_f64 v[20:21], -v[20:21], v[32:33], v[34:35]
	v_fma_f64 v[24:25], -v[24:25], v[36:37], v[30:31]
	s_delay_alu instid0(VALU_DEP_2) | instskip(SKIP_1) | instid1(VALU_DEP_2)
	v_div_fmas_f64 v[20:21], v[20:21], v[26:27], v[32:33]
	s_mov_b32 vcc_lo, s7
	v_div_fmas_f64 v[24:25], v[24:25], v[28:29], v[36:37]
	s_delay_alu instid0(VALU_DEP_2)
	v_div_fixup_f64 v[26:27], v[20:21], v[6:7], v[18:19]
	v_add_nc_u32_e32 v6, 0x3800, v3
	ds_load_2addr_b64 v[18:21], v6 offset0:239 offset1:255
	v_div_fixup_f64 v[12:13], v[24:25], v[16:17], v[12:13]
	s_waitcnt lgkmcnt(0)
	v_fma_f64 v[16:17], -v[26:27], v[18:19], v[20:21]
	v_fma_f64 v[10:11], -v[26:27], v[10:11], v[8:9]
	ds_load_2addr_stride64_b64 v[6:9], v39 offset0:16 offset1:32
	v_mul_f64 v[18:19], v[26:27], -v[22:23]
	s_waitcnt lgkmcnt(0)
	v_mul_f64 v[6:7], v[12:13], -v[6:7]
	v_fma_f64 v[8:9], -v[12:13], v[8:9], v[16:17]
	v_fma_f64 v[10:11], -v[12:13], v[14:15], v[10:11]
	v_add_nc_u32_e32 v12, 0x1f8, v3
	ds_store_b64 v3, v[8:9] offset:16376
	ds_store_b64 v38, v[18:19]
	ds_store_2addr_stride64_b64 v12, v[10:11], v[6:7] offset0:7 offset1:15
.LBB39_10:
	s_or_b32 exec_lo, exec_lo, s8
	v_cmp_gt_u32_e64 s8, 8, v0
	s_waitcnt lgkmcnt(0)
	s_barrier
	buffer_gl0_inv
	s_and_saveexec_b32 s9, s8
	s_cbranch_execz .LBB39_12
; %bb.11:
	v_lshlrev_b32_e32 v3, 9, v2
	s_delay_alu instid0(VALU_DEP_1)
	v_add_nc_u32_e32 v6, 0x800, v3
	v_add_nc_u32_e32 v38, -8, v3
	v_add_nc_u32_e32 v10, 0xfffffef8, v3
	v_add_nc_u32_e32 v11, 0x1800, v3
	ds_load_2addr_b64 v[6:9], v6 offset0:223 offset1:255
	ds_load_b64 v[18:19], v38
	ds_load_b64 v[22:23], v10
	v_lshl_or_b32 v10, v2, 6, 31
	s_delay_alu instid0(VALU_DEP_1) | instskip(NEXT) | instid1(VALU_DEP_1)
	v_min_u32_e32 v10, 0x1ff, v10
	v_lshlrev_b32_e32 v39, 3, v10
	ds_load_2addr_b64 v[10:13], v11 offset0:223 offset1:255
	ds_load_2addr_stride64_b64 v[14:17], v39 offset1:8
	s_waitcnt lgkmcnt(3)
	v_div_scale_f64 v[20:21], null, v[6:7], v[6:7], v[18:19]
	v_div_scale_f64 v[34:35], vcc_lo, v[18:19], v[6:7], v[18:19]
	s_waitcnt lgkmcnt(0)
	v_div_scale_f64 v[24:25], null, v[16:17], v[16:17], v[12:13]
	s_delay_alu instid0(VALU_DEP_3) | instskip(NEXT) | instid1(VALU_DEP_1)
	v_rcp_f64_e32 v[26:27], v[20:21]
	v_rcp_f64_e32 v[28:29], v[24:25]
	s_waitcnt_depctr 0xfff
	v_fma_f64 v[30:31], -v[20:21], v[26:27], 1.0
	v_fma_f64 v[32:33], -v[24:25], v[28:29], 1.0
	s_delay_alu instid0(VALU_DEP_2) | instskip(NEXT) | instid1(VALU_DEP_2)
	v_fma_f64 v[26:27], v[26:27], v[30:31], v[26:27]
	v_fma_f64 v[28:29], v[28:29], v[32:33], v[28:29]
	s_delay_alu instid0(VALU_DEP_2) | instskip(NEXT) | instid1(VALU_DEP_2)
	v_fma_f64 v[30:31], -v[20:21], v[26:27], 1.0
	v_fma_f64 v[32:33], -v[24:25], v[28:29], 1.0
	s_delay_alu instid0(VALU_DEP_2) | instskip(SKIP_1) | instid1(VALU_DEP_3)
	v_fma_f64 v[26:27], v[26:27], v[30:31], v[26:27]
	v_div_scale_f64 v[30:31], s7, v[12:13], v[16:17], v[12:13]
	v_fma_f64 v[28:29], v[28:29], v[32:33], v[28:29]
	s_delay_alu instid0(VALU_DEP_3) | instskip(NEXT) | instid1(VALU_DEP_2)
	v_mul_f64 v[32:33], v[34:35], v[26:27]
	v_mul_f64 v[36:37], v[30:31], v[28:29]
	s_delay_alu instid0(VALU_DEP_2) | instskip(NEXT) | instid1(VALU_DEP_2)
	v_fma_f64 v[20:21], -v[20:21], v[32:33], v[34:35]
	v_fma_f64 v[24:25], -v[24:25], v[36:37], v[30:31]
	s_delay_alu instid0(VALU_DEP_2) | instskip(SKIP_1) | instid1(VALU_DEP_2)
	v_div_fmas_f64 v[20:21], v[20:21], v[26:27], v[32:33]
	s_mov_b32 vcc_lo, s7
	v_div_fmas_f64 v[24:25], v[24:25], v[28:29], v[36:37]
	s_delay_alu instid0(VALU_DEP_2)
	v_div_fixup_f64 v[26:27], v[20:21], v[6:7], v[18:19]
	v_add_nc_u32_e32 v6, 0x3800, v3
	ds_load_2addr_b64 v[18:21], v6 offset0:223 offset1:255
	v_div_fixup_f64 v[12:13], v[24:25], v[16:17], v[12:13]
	s_waitcnt lgkmcnt(0)
	v_fma_f64 v[16:17], -v[26:27], v[18:19], v[20:21]
	v_fma_f64 v[10:11], -v[26:27], v[10:11], v[8:9]
	ds_load_2addr_stride64_b64 v[6:9], v39 offset0:16 offset1:32
	v_mul_f64 v[18:19], v[26:27], -v[22:23]
	s_waitcnt lgkmcnt(0)
	v_mul_f64 v[6:7], v[12:13], -v[6:7]
	v_fma_f64 v[8:9], -v[12:13], v[8:9], v[16:17]
	v_fma_f64 v[10:11], -v[12:13], v[14:15], v[10:11]
	v_add_nc_u32_e32 v12, 0x1f8, v3
	ds_store_b64 v3, v[8:9] offset:16376
	ds_store_b64 v38, v[18:19]
	ds_store_2addr_stride64_b64 v12, v[10:11], v[6:7] offset0:7 offset1:15
.LBB39_12:
	s_or_b32 exec_lo, exec_lo, s9
	v_cmp_gt_u32_e64 s9, 4, v0
	s_waitcnt lgkmcnt(0)
	s_barrier
	buffer_gl0_inv
	s_and_saveexec_b32 s10, s9
	s_cbranch_execz .LBB39_14
; %bb.13:
	v_lshlrev_b32_e32 v3, 10, v2
	s_delay_alu instid0(VALU_DEP_1)
	v_add_nc_u32_e32 v38, -8, v3
	v_add_nc_u32_e32 v39, 0x1f8, v3
	v_add_nc_u32_e32 v14, 0xfffffdf8, v3
	ds_load_b64 v[18:19], v38
	ds_load_2addr_stride64_b64 v[6:9], v39 offset0:6 offset1:7
	ds_load_2addr_stride64_b64 v[10:13], v39 offset0:14 offset1:15
	ds_load_b64 v[22:23], v14
	v_lshl_or_b32 v14, v2, 7, 63
	s_delay_alu instid0(VALU_DEP_1) | instskip(NEXT) | instid1(VALU_DEP_1)
	v_min_u32_e32 v14, 0x1ff, v14
	v_lshlrev_b32_e32 v40, 3, v14
	ds_load_2addr_stride64_b64 v[14:17], v40 offset1:8
	s_waitcnt lgkmcnt(3)
	v_div_scale_f64 v[20:21], null, v[6:7], v[6:7], v[18:19]
	v_div_scale_f64 v[34:35], vcc_lo, v[18:19], v[6:7], v[18:19]
	s_waitcnt lgkmcnt(0)
	v_div_scale_f64 v[24:25], null, v[16:17], v[16:17], v[12:13]
	s_delay_alu instid0(VALU_DEP_3) | instskip(NEXT) | instid1(VALU_DEP_1)
	v_rcp_f64_e32 v[26:27], v[20:21]
	v_rcp_f64_e32 v[28:29], v[24:25]
	s_waitcnt_depctr 0xfff
	v_fma_f64 v[30:31], -v[20:21], v[26:27], 1.0
	v_fma_f64 v[32:33], -v[24:25], v[28:29], 1.0
	s_delay_alu instid0(VALU_DEP_2) | instskip(NEXT) | instid1(VALU_DEP_2)
	v_fma_f64 v[26:27], v[26:27], v[30:31], v[26:27]
	v_fma_f64 v[28:29], v[28:29], v[32:33], v[28:29]
	s_delay_alu instid0(VALU_DEP_2) | instskip(NEXT) | instid1(VALU_DEP_2)
	v_fma_f64 v[30:31], -v[20:21], v[26:27], 1.0
	v_fma_f64 v[32:33], -v[24:25], v[28:29], 1.0
	s_delay_alu instid0(VALU_DEP_2) | instskip(SKIP_1) | instid1(VALU_DEP_3)
	v_fma_f64 v[26:27], v[26:27], v[30:31], v[26:27]
	v_div_scale_f64 v[30:31], s7, v[12:13], v[16:17], v[12:13]
	v_fma_f64 v[28:29], v[28:29], v[32:33], v[28:29]
	s_delay_alu instid0(VALU_DEP_3) | instskip(NEXT) | instid1(VALU_DEP_2)
	v_mul_f64 v[32:33], v[34:35], v[26:27]
	v_mul_f64 v[36:37], v[30:31], v[28:29]
	s_delay_alu instid0(VALU_DEP_2) | instskip(NEXT) | instid1(VALU_DEP_2)
	v_fma_f64 v[20:21], -v[20:21], v[32:33], v[34:35]
	v_fma_f64 v[24:25], -v[24:25], v[36:37], v[30:31]
	s_delay_alu instid0(VALU_DEP_2) | instskip(SKIP_1) | instid1(VALU_DEP_2)
	v_div_fmas_f64 v[20:21], v[20:21], v[26:27], v[32:33]
	s_mov_b32 vcc_lo, s7
	v_div_fmas_f64 v[24:25], v[24:25], v[28:29], v[36:37]
	s_delay_alu instid0(VALU_DEP_2)
	v_div_fixup_f64 v[26:27], v[20:21], v[6:7], v[18:19]
	ds_load_2addr_stride64_b64 v[18:21], v39 offset0:30 offset1:31
	v_div_fixup_f64 v[12:13], v[24:25], v[16:17], v[12:13]
	s_waitcnt lgkmcnt(0)
	v_fma_f64 v[16:17], -v[26:27], v[18:19], v[20:21]
	v_fma_f64 v[10:11], -v[26:27], v[10:11], v[8:9]
	ds_load_2addr_stride64_b64 v[6:9], v40 offset0:16 offset1:32
	v_mul_f64 v[18:19], v[26:27], -v[22:23]
	s_waitcnt lgkmcnt(0)
	v_mul_f64 v[6:7], v[12:13], -v[6:7]
	v_fma_f64 v[8:9], -v[12:13], v[8:9], v[16:17]
	v_fma_f64 v[10:11], -v[12:13], v[14:15], v[10:11]
	ds_store_b64 v3, v[8:9] offset:16376
	ds_store_b64 v38, v[18:19]
	ds_store_2addr_stride64_b64 v39, v[10:11], v[6:7] offset0:7 offset1:15
.LBB39_14:
	s_or_b32 exec_lo, exec_lo, s10
	v_cmp_gt_u32_e64 s10, 2, v0
	s_waitcnt lgkmcnt(0)
	s_barrier
	buffer_gl0_inv
	s_and_saveexec_b32 s11, s10
	s_cbranch_execz .LBB39_16
; %bb.15:
	v_lshlrev_b32_e32 v36, 11, v2
	v_lshl_or_b32 v2, v2, 8, 0x7f
	s_delay_alu instid0(VALU_DEP_2) | instskip(SKIP_1) | instid1(VALU_DEP_3)
	v_add_nc_u32_e32 v37, 0x1f8, v36
	v_add_nc_u32_e32 v38, -8, v36
	v_min_u32_e32 v2, 0x1ff, v2
	v_add_nc_u32_e32 v3, 0xfffffbf8, v36
	ds_load_2addr_stride64_b64 v[6:9], v37 offset0:5 offset1:7
	ds_load_b64 v[18:19], v38
	v_lshlrev_b32_e32 v39, 3, v2
	ds_load_b64 v[22:23], v3
	ds_load_2addr_stride64_b64 v[10:13], v37 offset0:13 offset1:15
	ds_load_2addr_stride64_b64 v[14:17], v39 offset1:8
	s_waitcnt lgkmcnt(3)
	v_div_scale_f64 v[20:21], null, v[6:7], v[6:7], v[18:19]
	v_div_scale_f64 v[32:33], vcc_lo, v[18:19], v[6:7], v[18:19]
	s_waitcnt lgkmcnt(0)
	v_div_scale_f64 v[2:3], null, v[16:17], v[16:17], v[12:13]
	s_delay_alu instid0(VALU_DEP_3) | instskip(NEXT) | instid1(VALU_DEP_1)
	v_rcp_f64_e32 v[24:25], v[20:21]
	v_rcp_f64_e32 v[26:27], v[2:3]
	s_waitcnt_depctr 0xfff
	v_fma_f64 v[28:29], -v[20:21], v[24:25], 1.0
	v_fma_f64 v[30:31], -v[2:3], v[26:27], 1.0
	s_delay_alu instid0(VALU_DEP_2) | instskip(NEXT) | instid1(VALU_DEP_2)
	v_fma_f64 v[24:25], v[24:25], v[28:29], v[24:25]
	v_fma_f64 v[26:27], v[26:27], v[30:31], v[26:27]
	s_delay_alu instid0(VALU_DEP_2) | instskip(NEXT) | instid1(VALU_DEP_2)
	v_fma_f64 v[28:29], -v[20:21], v[24:25], 1.0
	v_fma_f64 v[30:31], -v[2:3], v[26:27], 1.0
	s_delay_alu instid0(VALU_DEP_2) | instskip(SKIP_1) | instid1(VALU_DEP_3)
	v_fma_f64 v[24:25], v[24:25], v[28:29], v[24:25]
	v_div_scale_f64 v[28:29], s7, v[12:13], v[16:17], v[12:13]
	v_fma_f64 v[26:27], v[26:27], v[30:31], v[26:27]
	s_delay_alu instid0(VALU_DEP_3) | instskip(NEXT) | instid1(VALU_DEP_2)
	v_mul_f64 v[30:31], v[32:33], v[24:25]
	v_mul_f64 v[34:35], v[28:29], v[26:27]
	s_delay_alu instid0(VALU_DEP_2) | instskip(NEXT) | instid1(VALU_DEP_2)
	v_fma_f64 v[20:21], -v[20:21], v[30:31], v[32:33]
	v_fma_f64 v[2:3], -v[2:3], v[34:35], v[28:29]
	s_delay_alu instid0(VALU_DEP_2) | instskip(SKIP_1) | instid1(VALU_DEP_2)
	v_div_fmas_f64 v[20:21], v[20:21], v[24:25], v[30:31]
	s_mov_b32 vcc_lo, s7
	v_div_fmas_f64 v[2:3], v[2:3], v[26:27], v[34:35]
	s_delay_alu instid0(VALU_DEP_2)
	v_div_fixup_f64 v[24:25], v[20:21], v[6:7], v[18:19]
	ds_load_2addr_stride64_b64 v[18:21], v37 offset0:29 offset1:31
	v_div_fixup_f64 v[2:3], v[2:3], v[16:17], v[12:13]
	s_waitcnt lgkmcnt(0)
	v_fma_f64 v[12:13], -v[24:25], v[18:19], v[20:21]
	v_fma_f64 v[10:11], -v[24:25], v[10:11], v[8:9]
	ds_load_2addr_stride64_b64 v[6:9], v39 offset0:16 offset1:32
	v_mul_f64 v[16:17], v[24:25], -v[22:23]
	s_waitcnt lgkmcnt(0)
	v_mul_f64 v[6:7], v[2:3], -v[6:7]
	v_fma_f64 v[8:9], -v[2:3], v[8:9], v[12:13]
	v_fma_f64 v[2:3], -v[2:3], v[14:15], v[10:11]
	ds_store_b64 v36, v[8:9] offset:16376
	ds_store_b64 v38, v[16:17]
	ds_store_2addr_stride64_b64 v37, v[2:3], v[6:7] offset0:7 offset1:15
.LBB39_16:
	s_or_b32 exec_lo, exec_lo, s11
	v_cmp_ne_u32_e64 s7, 0, v0
	s_mov_b32 s11, exec_lo
	s_waitcnt lgkmcnt(0)
	s_barrier
	buffer_gl0_inv
	v_cmpx_eq_u32_e32 0, v0
	s_cbranch_execz .LBB39_18
; %bb.17:
	v_add_nc_u32_e64 v24, 0x1f8, 0
	ds_load_2addr_stride64_b64 v[6:9], v24 offset0:15 offset1:19
	ds_load_2addr_stride64_b64 v[10:13], v24 offset0:7 offset1:11
	s_waitcnt lgkmcnt(0)
	v_mul_f64 v[2:3], v[8:9], v[10:11]
	s_delay_alu instid0(VALU_DEP_1) | instskip(NEXT) | instid1(VALU_DEP_1)
	v_fma_f64 v[2:3], v[6:7], v[12:13], -v[2:3]
	v_div_scale_f64 v[14:15], null, v[2:3], v[2:3], 1.0
	v_div_scale_f64 v[20:21], vcc_lo, 1.0, v[2:3], 1.0
	s_delay_alu instid0(VALU_DEP_2) | instskip(SKIP_2) | instid1(VALU_DEP_1)
	v_rcp_f64_e32 v[16:17], v[14:15]
	s_waitcnt_depctr 0xfff
	v_fma_f64 v[18:19], -v[14:15], v[16:17], 1.0
	v_fma_f64 v[16:17], v[16:17], v[18:19], v[16:17]
	s_delay_alu instid0(VALU_DEP_1) | instskip(NEXT) | instid1(VALU_DEP_1)
	v_fma_f64 v[18:19], -v[14:15], v[16:17], 1.0
	v_fma_f64 v[18:19], v[16:17], v[18:19], v[16:17]
	s_delay_alu instid0(VALU_DEP_1) | instskip(NEXT) | instid1(VALU_DEP_1)
	v_mul_f64 v[22:23], v[20:21], v[18:19]
	v_fma_f64 v[20:21], -v[14:15], v[22:23], v[20:21]
	ds_load_2addr_stride64_b64 v[14:17], v24 offset0:35 offset1:39
	s_waitcnt lgkmcnt(0)
	v_mul_f64 v[8:9], v[8:9], v[16:17]
	v_mul_f64 v[10:11], v[10:11], v[14:15]
	v_div_fmas_f64 v[18:19], v[20:21], v[18:19], v[22:23]
	s_delay_alu instid0(VALU_DEP_3) | instskip(NEXT) | instid1(VALU_DEP_3)
	v_fma_f64 v[6:7], v[6:7], v[14:15], -v[8:9]
	v_fma_f64 v[8:9], v[12:13], v[16:17], -v[10:11]
	s_delay_alu instid0(VALU_DEP_3) | instskip(NEXT) | instid1(VALU_DEP_1)
	v_div_fixup_f64 v[2:3], v[18:19], v[2:3], 1.0
	v_mul_f64 v[6:7], v[2:3], v[6:7]
	s_delay_alu instid0(VALU_DEP_3)
	v_mul_f64 v[2:3], v[2:3], v[8:9]
	ds_store_2addr_stride64_b64 v24, v[6:7], v[2:3] offset0:27 offset1:31
.LBB39_18:
	s_or_b32 exec_lo, exec_lo, s11
	s_load_b64 s[12:13], s[0:1], 0x30
	s_waitcnt lgkmcnt(0)
	s_barrier
	buffer_gl0_inv
	s_and_saveexec_b32 s11, s10
	s_cbranch_execz .LBB39_24
; %bb.19:
	v_lshlrev_b32_e32 v2, 8, v0
	s_delay_alu instid0(VALU_DEP_1) | instskip(SKIP_1) | instid1(SALU_CYCLE_1)
	v_lshlrev_b32_e32 v6, 3, v2
                                        ; implicit-def: $vgpr2_vgpr3
	s_and_saveexec_b32 s10, s7
	s_xor_b32 s10, exec_lo, s10
	s_cbranch_execz .LBB39_21
; %bb.20:
	s_delay_alu instid0(VALU_DEP_1)
	v_add_nc_u32_e32 v7, 0x1f8, v6
	ds_load_b64 v[2:3], v6 offset:17400
	ds_load_2addr_stride64_b64 v[7:10], v7 offset0:1 offset1:23
	s_waitcnt lgkmcnt(0)
	v_fma_f64 v[2:3], -v[7:8], v[9:10], v[2:3]
.LBB39_21:
	s_and_not1_saveexec_b32 s10, s10
	s_cbranch_execz .LBB39_23
; %bb.22:
	ds_load_b64 v[2:3], v6 offset:17400
.LBB39_23:
	s_or_b32 exec_lo, exec_lo, s10
	v_add_nc_u32_e32 v7, 0x1f8, v6
	ds_load_b64 v[11:12], v6 offset:14328
	ds_load_2addr_stride64_b64 v[7:10], v7 offset0:9 offset1:17
	s_waitcnt lgkmcnt(0)
	v_fma_f64 v[2:3], -v[9:10], v[11:12], v[2:3]
	s_delay_alu instid0(VALU_DEP_1) | instskip(NEXT) | instid1(VALU_DEP_1)
	v_div_scale_f64 v[9:10], null, v[7:8], v[7:8], v[2:3]
	v_rcp_f64_e32 v[11:12], v[9:10]
	s_waitcnt_depctr 0xfff
	v_fma_f64 v[13:14], -v[9:10], v[11:12], 1.0
	s_delay_alu instid0(VALU_DEP_1) | instskip(NEXT) | instid1(VALU_DEP_1)
	v_fma_f64 v[11:12], v[11:12], v[13:14], v[11:12]
	v_fma_f64 v[13:14], -v[9:10], v[11:12], 1.0
	s_delay_alu instid0(VALU_DEP_1) | instskip(SKIP_1) | instid1(VALU_DEP_1)
	v_fma_f64 v[11:12], v[11:12], v[13:14], v[11:12]
	v_div_scale_f64 v[13:14], vcc_lo, v[2:3], v[7:8], v[2:3]
	v_mul_f64 v[15:16], v[13:14], v[11:12]
	s_delay_alu instid0(VALU_DEP_1) | instskip(NEXT) | instid1(VALU_DEP_1)
	v_fma_f64 v[9:10], -v[9:10], v[15:16], v[13:14]
	v_div_fmas_f64 v[9:10], v[9:10], v[11:12], v[15:16]
	s_delay_alu instid0(VALU_DEP_1)
	v_div_fixup_f64 v[2:3], v[9:10], v[7:8], v[2:3]
	ds_store_b64 v6, v[2:3] offset:13304
.LBB39_24:
	s_or_b32 exec_lo, exec_lo, s11
	v_or_b32_e32 v6, 0x3000, v5
	s_waitcnt lgkmcnt(0)
	s_barrier
	buffer_gl0_inv
	s_and_saveexec_b32 s10, s9
	s_cbranch_execz .LBB39_30
; %bb.25:
	v_lshlrev_b32_e32 v2, 7, v0
	s_delay_alu instid0(VALU_DEP_1) | instskip(SKIP_1) | instid1(SALU_CYCLE_1)
	v_lshlrev_b32_e32 v7, 3, v2
                                        ; implicit-def: $vgpr2_vgpr3
	s_and_saveexec_b32 s9, s7
	s_xor_b32 s9, exec_lo, s9
	s_cbranch_execz .LBB39_27
; %bb.26:
	s_delay_alu instid0(VALU_DEP_1)
	v_add_nc_u32_e32 v8, 0x1f8, v7
	ds_load_b64 v[2:3], v7 offset:16888
	ds_load_2addr_stride64_b64 v[8:11], v8 offset1:23
	s_waitcnt lgkmcnt(0)
	v_fma_f64 v[2:3], -v[8:9], v[10:11], v[2:3]
.LBB39_27:
	s_and_not1_saveexec_b32 s9, s9
	s_cbranch_execz .LBB39_29
; %bb.28:
	ds_load_b64 v[2:3], v7 offset:16888
.LBB39_29:
	s_or_b32 exec_lo, exec_lo, s9
	v_add_nc_u32_e32 v8, 0x1f8, v7
	ds_load_b64 v[12:13], v7 offset:13304
	ds_load_2addr_stride64_b64 v[8:11], v8 offset0:8 offset1:16
	s_waitcnt lgkmcnt(0)
	v_fma_f64 v[2:3], -v[10:11], v[12:13], v[2:3]
	s_delay_alu instid0(VALU_DEP_1) | instskip(NEXT) | instid1(VALU_DEP_1)
	v_div_scale_f64 v[10:11], null, v[8:9], v[8:9], v[2:3]
	v_rcp_f64_e32 v[12:13], v[10:11]
	s_waitcnt_depctr 0xfff
	v_fma_f64 v[14:15], -v[10:11], v[12:13], 1.0
	s_delay_alu instid0(VALU_DEP_1) | instskip(NEXT) | instid1(VALU_DEP_1)
	v_fma_f64 v[12:13], v[12:13], v[14:15], v[12:13]
	v_fma_f64 v[14:15], -v[10:11], v[12:13], 1.0
	s_delay_alu instid0(VALU_DEP_1) | instskip(SKIP_1) | instid1(VALU_DEP_1)
	v_fma_f64 v[12:13], v[12:13], v[14:15], v[12:13]
	v_div_scale_f64 v[14:15], vcc_lo, v[2:3], v[8:9], v[2:3]
	v_mul_f64 v[16:17], v[14:15], v[12:13]
	s_delay_alu instid0(VALU_DEP_1) | instskip(NEXT) | instid1(VALU_DEP_1)
	v_fma_f64 v[10:11], -v[10:11], v[16:17], v[14:15]
	v_div_fmas_f64 v[10:11], v[10:11], v[12:13], v[16:17]
	s_delay_alu instid0(VALU_DEP_1)
	v_div_fixup_f64 v[2:3], v[10:11], v[8:9], v[2:3]
	ds_store_b64 v7, v[2:3] offset:12792
.LBB39_30:
	s_or_b32 exec_lo, exec_lo, s10
	s_waitcnt lgkmcnt(0)
	s_barrier
	buffer_gl0_inv
	s_and_saveexec_b32 s9, s8
	s_cbranch_execz .LBB39_36
; %bb.31:
	v_lshlrev_b32_e32 v2, 6, v0
	s_delay_alu instid0(VALU_DEP_1) | instskip(SKIP_1) | instid1(SALU_CYCLE_1)
	v_lshlrev_b32_e32 v7, 3, v2
                                        ; implicit-def: $vgpr2_vgpr3
	s_and_saveexec_b32 s8, s7
	s_xor_b32 s8, exec_lo, s8
	s_cbranch_execz .LBB39_33
; %bb.32:
	ds_load_b64 v[2:3], v7 offset:248
	ds_load_b64 v[8:9], v7 offset:16632
	ds_load_b64 v[10:11], v7 offset:12280
	s_waitcnt lgkmcnt(0)
	v_fma_f64 v[2:3], -v[2:3], v[10:11], v[8:9]
.LBB39_33:
	s_and_not1_saveexec_b32 s8, s8
	s_cbranch_execz .LBB39_35
; %bb.34:
	ds_load_b64 v[2:3], v7 offset:16632
.LBB39_35:
	s_or_b32 exec_lo, exec_lo, s8
	v_add_nc_u32_e32 v8, 0xf8, v7
	ds_load_b64 v[12:13], v7 offset:12792
	ds_load_2addr_stride64_b64 v[8:11], v8 offset0:8 offset1:16
	s_waitcnt lgkmcnt(0)
	v_fma_f64 v[2:3], -v[10:11], v[12:13], v[2:3]
	s_delay_alu instid0(VALU_DEP_1) | instskip(NEXT) | instid1(VALU_DEP_1)
	v_div_scale_f64 v[10:11], null, v[8:9], v[8:9], v[2:3]
	v_rcp_f64_e32 v[12:13], v[10:11]
	s_waitcnt_depctr 0xfff
	v_fma_f64 v[14:15], -v[10:11], v[12:13], 1.0
	s_delay_alu instid0(VALU_DEP_1) | instskip(NEXT) | instid1(VALU_DEP_1)
	v_fma_f64 v[12:13], v[12:13], v[14:15], v[12:13]
	v_fma_f64 v[14:15], -v[10:11], v[12:13], 1.0
	s_delay_alu instid0(VALU_DEP_1) | instskip(SKIP_1) | instid1(VALU_DEP_1)
	v_fma_f64 v[12:13], v[12:13], v[14:15], v[12:13]
	v_div_scale_f64 v[14:15], vcc_lo, v[2:3], v[8:9], v[2:3]
	v_mul_f64 v[16:17], v[14:15], v[12:13]
	s_delay_alu instid0(VALU_DEP_1) | instskip(NEXT) | instid1(VALU_DEP_1)
	v_fma_f64 v[10:11], -v[10:11], v[16:17], v[14:15]
	v_div_fmas_f64 v[10:11], v[10:11], v[12:13], v[16:17]
	s_delay_alu instid0(VALU_DEP_1)
	v_div_fixup_f64 v[2:3], v[10:11], v[8:9], v[2:3]
	ds_store_b64 v7, v[2:3] offset:12536
.LBB39_36:
	s_or_b32 exec_lo, exec_lo, s9
	s_waitcnt lgkmcnt(0)
	s_barrier
	buffer_gl0_inv
	s_and_saveexec_b32 s8, s6
	s_cbranch_execz .LBB39_42
; %bb.37:
	v_lshlrev_b32_e32 v2, 5, v0
	s_delay_alu instid0(VALU_DEP_1) | instskip(SKIP_1) | instid1(SALU_CYCLE_1)
	v_lshlrev_b32_e32 v7, 3, v2
                                        ; implicit-def: $vgpr2_vgpr3
	s_and_saveexec_b32 s6, s7
	s_xor_b32 s6, exec_lo, s6
	s_cbranch_execz .LBB39_39
; %bb.38:
	ds_load_b64 v[2:3], v7 offset:120
	ds_load_b64 v[8:9], v7 offset:16504
	ds_load_b64 v[10:11], v7 offset:12280
	s_waitcnt lgkmcnt(0)
	v_fma_f64 v[2:3], -v[2:3], v[10:11], v[8:9]
.LBB39_39:
	s_and_not1_saveexec_b32 s6, s6
	s_cbranch_execz .LBB39_41
; %bb.40:
	ds_load_b64 v[2:3], v7 offset:16504
.LBB39_41:
	s_or_b32 exec_lo, exec_lo, s6
	v_add_nc_u32_e32 v8, 0x78, v7
	ds_load_b64 v[12:13], v7 offset:12536
	ds_load_2addr_stride64_b64 v[8:11], v8 offset0:8 offset1:16
	s_waitcnt lgkmcnt(0)
	v_fma_f64 v[2:3], -v[10:11], v[12:13], v[2:3]
	s_delay_alu instid0(VALU_DEP_1) | instskip(NEXT) | instid1(VALU_DEP_1)
	v_div_scale_f64 v[10:11], null, v[8:9], v[8:9], v[2:3]
	v_rcp_f64_e32 v[12:13], v[10:11]
	s_waitcnt_depctr 0xfff
	v_fma_f64 v[14:15], -v[10:11], v[12:13], 1.0
	s_delay_alu instid0(VALU_DEP_1) | instskip(NEXT) | instid1(VALU_DEP_1)
	v_fma_f64 v[12:13], v[12:13], v[14:15], v[12:13]
	v_fma_f64 v[14:15], -v[10:11], v[12:13], 1.0
	s_delay_alu instid0(VALU_DEP_1) | instskip(SKIP_1) | instid1(VALU_DEP_1)
	v_fma_f64 v[12:13], v[12:13], v[14:15], v[12:13]
	v_div_scale_f64 v[14:15], vcc_lo, v[2:3], v[8:9], v[2:3]
	v_mul_f64 v[16:17], v[14:15], v[12:13]
	s_delay_alu instid0(VALU_DEP_1) | instskip(NEXT) | instid1(VALU_DEP_1)
	v_fma_f64 v[10:11], -v[10:11], v[16:17], v[14:15]
	v_div_fmas_f64 v[10:11], v[10:11], v[12:13], v[16:17]
	s_delay_alu instid0(VALU_DEP_1)
	v_div_fixup_f64 v[2:3], v[10:11], v[8:9], v[2:3]
	ds_store_b64 v7, v[2:3] offset:12408
.LBB39_42:
	;; [unrolled: 51-line block ×3, first 2 shown]
	s_or_b32 exec_lo, exec_lo, s6
	s_waitcnt lgkmcnt(0)
	s_barrier
	buffer_gl0_inv
	s_and_saveexec_b32 s5, s4
	s_cbranch_execz .LBB39_54
; %bb.49:
	v_lshlrev_b32_e32 v5, 3, v5
                                        ; implicit-def: $vgpr2_vgpr3
	s_and_saveexec_b32 s4, s7
	s_delay_alu instid0(SALU_CYCLE_1)
	s_xor_b32 s4, exec_lo, s4
	s_cbranch_execz .LBB39_51
; %bb.50:
	ds_load_b64 v[2:3], v5 offset:24
	ds_load_b64 v[7:8], v5 offset:16408
	;; [unrolled: 1-line block ×3, first 2 shown]
	s_waitcnt lgkmcnt(0)
	v_fma_f64 v[2:3], -v[2:3], v[9:10], v[7:8]
.LBB39_51:
	s_and_not1_saveexec_b32 s4, s4
	s_cbranch_execz .LBB39_53
; %bb.52:
	ds_load_b64 v[2:3], v5 offset:16408
.LBB39_53:
	s_or_b32 exec_lo, exec_lo, s4
	v_add_nc_u32_e32 v7, 24, v5
	ds_load_b64 v[11:12], v5 offset:12344
	ds_load_2addr_stride64_b64 v[7:10], v7 offset0:8 offset1:16
	s_waitcnt lgkmcnt(0)
	v_fma_f64 v[2:3], -v[9:10], v[11:12], v[2:3]
	s_delay_alu instid0(VALU_DEP_1) | instskip(NEXT) | instid1(VALU_DEP_1)
	v_div_scale_f64 v[9:10], null, v[7:8], v[7:8], v[2:3]
	v_rcp_f64_e32 v[11:12], v[9:10]
	s_waitcnt_depctr 0xfff
	v_fma_f64 v[13:14], -v[9:10], v[11:12], 1.0
	s_delay_alu instid0(VALU_DEP_1) | instskip(NEXT) | instid1(VALU_DEP_1)
	v_fma_f64 v[11:12], v[11:12], v[13:14], v[11:12]
	v_fma_f64 v[13:14], -v[9:10], v[11:12], 1.0
	s_delay_alu instid0(VALU_DEP_1) | instskip(SKIP_1) | instid1(VALU_DEP_1)
	v_fma_f64 v[11:12], v[11:12], v[13:14], v[11:12]
	v_div_scale_f64 v[13:14], vcc_lo, v[2:3], v[7:8], v[2:3]
	v_mul_f64 v[15:16], v[13:14], v[11:12]
	s_delay_alu instid0(VALU_DEP_1) | instskip(NEXT) | instid1(VALU_DEP_1)
	v_fma_f64 v[9:10], -v[9:10], v[15:16], v[13:14]
	v_div_fmas_f64 v[9:10], v[9:10], v[11:12], v[15:16]
	s_delay_alu instid0(VALU_DEP_1)
	v_div_fixup_f64 v[2:3], v[9:10], v[7:8], v[2:3]
	ds_store_b64 v5, v[2:3] offset:12312
.LBB39_54:
	s_or_b32 exec_lo, exec_lo, s5
	s_waitcnt lgkmcnt(0)
	s_barrier
	buffer_gl0_inv
	s_and_saveexec_b32 s4, s3
	s_cbranch_execz .LBB39_60
; %bb.55:
	v_lshlrev_b32_e32 v2, 2, v0
	s_delay_alu instid0(VALU_DEP_1) | instskip(SKIP_1) | instid1(SALU_CYCLE_1)
	v_lshlrev_b32_e32 v5, 3, v2
                                        ; implicit-def: $vgpr2_vgpr3
	s_and_saveexec_b32 s3, s7
	s_xor_b32 s3, exec_lo, s3
	s_cbranch_execz .LBB39_57
; %bb.56:
	ds_load_b64 v[2:3], v5 offset:8
	ds_load_b64 v[7:8], v5 offset:16392
	ds_load_b64 v[9:10], v5 offset:12280
	s_waitcnt lgkmcnt(0)
	v_fma_f64 v[2:3], -v[2:3], v[9:10], v[7:8]
.LBB39_57:
	s_and_not1_saveexec_b32 s3, s3
	s_cbranch_execz .LBB39_59
; %bb.58:
	ds_load_b64 v[2:3], v5 offset:16392
.LBB39_59:
	s_or_b32 exec_lo, exec_lo, s3
	v_add_nc_u32_e32 v7, 8, v5
	ds_load_b64 v[11:12], v5 offset:12312
	ds_load_2addr_stride64_b64 v[7:10], v7 offset0:8 offset1:16
	s_waitcnt lgkmcnt(0)
	v_fma_f64 v[2:3], -v[9:10], v[11:12], v[2:3]
	s_delay_alu instid0(VALU_DEP_1) | instskip(NEXT) | instid1(VALU_DEP_1)
	v_div_scale_f64 v[9:10], null, v[7:8], v[7:8], v[2:3]
	v_rcp_f64_e32 v[11:12], v[9:10]
	s_waitcnt_depctr 0xfff
	v_fma_f64 v[13:14], -v[9:10], v[11:12], 1.0
	s_delay_alu instid0(VALU_DEP_1) | instskip(NEXT) | instid1(VALU_DEP_1)
	v_fma_f64 v[11:12], v[11:12], v[13:14], v[11:12]
	v_fma_f64 v[13:14], -v[9:10], v[11:12], 1.0
	s_delay_alu instid0(VALU_DEP_1) | instskip(SKIP_1) | instid1(VALU_DEP_1)
	v_fma_f64 v[11:12], v[11:12], v[13:14], v[11:12]
	v_div_scale_f64 v[13:14], vcc_lo, v[2:3], v[7:8], v[2:3]
	v_mul_f64 v[15:16], v[13:14], v[11:12]
	s_delay_alu instid0(VALU_DEP_1) | instskip(NEXT) | instid1(VALU_DEP_1)
	v_fma_f64 v[9:10], -v[9:10], v[15:16], v[13:14]
	v_div_fmas_f64 v[9:10], v[9:10], v[11:12], v[15:16]
	s_delay_alu instid0(VALU_DEP_1)
	v_div_fixup_f64 v[2:3], v[9:10], v[7:8], v[2:3]
	ds_store_b64 v5, v[2:3] offset:12296
.LBB39_60:
	s_or_b32 exec_lo, exec_lo, s4
	s_waitcnt lgkmcnt(0)
	s_barrier
	buffer_gl0_inv
	s_and_saveexec_b32 s3, s2
	s_cbranch_execz .LBB39_66
; %bb.61:
	v_lshlrev_b32_e32 v0, 1, v0
                                        ; implicit-def: $vgpr2_vgpr3
	s_delay_alu instid0(VALU_DEP_1) | instskip(SKIP_1) | instid1(SALU_CYCLE_1)
	v_lshlrev_b32_e32 v0, 3, v0
	s_and_saveexec_b32 s2, s7
	s_xor_b32 s2, exec_lo, s2
	s_cbranch_execz .LBB39_63
; %bb.62:
	ds_load_b64 v[2:3], v0
	ds_load_b64 v[7:8], v0 offset:16384
	ds_load_b64 v[9:10], v0 offset:12280
	s_waitcnt lgkmcnt(0)
	v_fma_f64 v[2:3], -v[2:3], v[9:10], v[7:8]
.LBB39_63:
	s_and_not1_saveexec_b32 s2, s2
	s_cbranch_execz .LBB39_65
; %bb.64:
	ds_load_b64 v[2:3], v0 offset:16384
.LBB39_65:
	s_or_b32 exec_lo, exec_lo, s2
	ds_load_2addr_stride64_b64 v[7:10], v0 offset0:8 offset1:16
	ds_load_b64 v[11:12], v0 offset:12296
	s_waitcnt lgkmcnt(0)
	v_fma_f64 v[2:3], -v[9:10], v[11:12], v[2:3]
	s_delay_alu instid0(VALU_DEP_1) | instskip(NEXT) | instid1(VALU_DEP_1)
	v_div_scale_f64 v[9:10], null, v[7:8], v[7:8], v[2:3]
	v_rcp_f64_e32 v[11:12], v[9:10]
	s_waitcnt_depctr 0xfff
	v_fma_f64 v[13:14], -v[9:10], v[11:12], 1.0
	s_delay_alu instid0(VALU_DEP_1) | instskip(NEXT) | instid1(VALU_DEP_1)
	v_fma_f64 v[11:12], v[11:12], v[13:14], v[11:12]
	v_fma_f64 v[13:14], -v[9:10], v[11:12], 1.0
	s_delay_alu instid0(VALU_DEP_1) | instskip(SKIP_1) | instid1(VALU_DEP_1)
	v_fma_f64 v[11:12], v[11:12], v[13:14], v[11:12]
	v_div_scale_f64 v[13:14], vcc_lo, v[2:3], v[7:8], v[2:3]
	v_mul_f64 v[15:16], v[13:14], v[11:12]
	s_delay_alu instid0(VALU_DEP_1) | instskip(NEXT) | instid1(VALU_DEP_1)
	v_fma_f64 v[9:10], -v[9:10], v[15:16], v[13:14]
	v_div_fmas_f64 v[9:10], v[9:10], v[11:12], v[15:16]
	s_delay_alu instid0(VALU_DEP_1)
	v_div_fixup_f64 v[2:3], v[9:10], v[7:8], v[2:3]
	ds_store_b64 v0, v[2:3] offset:12288
.LBB39_66:
	s_or_b32 exec_lo, exec_lo, s3
	s_load_b32 s0, s[0:1], 0x8
	s_waitcnt lgkmcnt(0)
	s_barrier
	buffer_gl0_inv
	s_mul_i32 s15, s15, s0
	s_delay_alu instid0(SALU_CYCLE_1) | instskip(SKIP_3) | instid1(VALU_DEP_1)
	v_dual_mov_b32 v8, 0 :: v_dual_add_nc_u32 v7, s15, v1
	ds_load_2addr_stride64_b64 v[0:3], v6 offset1:4
	v_lshlrev_b64 v[5:6], 3, v[7:8]
	v_add_nc_u32_e32 v7, s15, v4
	v_lshlrev_b64 v[7:8], 3, v[7:8]
	s_delay_alu instid0(VALU_DEP_3) | instskip(NEXT) | instid1(VALU_DEP_4)
	v_add_co_u32 v4, vcc_lo, s12, v5
	v_add_co_ci_u32_e32 v5, vcc_lo, s13, v6, vcc_lo
	s_delay_alu instid0(VALU_DEP_3) | instskip(NEXT) | instid1(VALU_DEP_4)
	v_add_co_u32 v6, vcc_lo, s12, v7
	v_add_co_ci_u32_e32 v7, vcc_lo, s13, v8, vcc_lo
	s_waitcnt lgkmcnt(0)
	s_clause 0x1
	global_store_b64 v[4:5], v[0:1], off
	global_store_b64 v[6:7], v[2:3], off
	s_nop 0
	s_sendmsg sendmsg(MSG_DEALLOC_VGPRS)
	s_endpgm
	.section	.rodata,"a",@progbits
	.p2align	6, 0x0
	.amdhsa_kernel _ZN9rocsparseL48gtsv_nopivot_strided_batch_cr_pow2_stage2_kernelILj256EdEEviiiPKT0_S3_S3_S3_PS1_
		.amdhsa_group_segment_fixed_size 20480
		.amdhsa_private_segment_fixed_size 0
		.amdhsa_kernarg_size 312
		.amdhsa_user_sgpr_count 14
		.amdhsa_user_sgpr_dispatch_ptr 0
		.amdhsa_user_sgpr_queue_ptr 0
		.amdhsa_user_sgpr_kernarg_segment_ptr 1
		.amdhsa_user_sgpr_dispatch_id 0
		.amdhsa_user_sgpr_private_segment_size 0
		.amdhsa_wavefront_size32 1
		.amdhsa_uses_dynamic_stack 0
		.amdhsa_enable_private_segment 0
		.amdhsa_system_sgpr_workgroup_id_x 1
		.amdhsa_system_sgpr_workgroup_id_y 1
		.amdhsa_system_sgpr_workgroup_id_z 0
		.amdhsa_system_sgpr_workgroup_info 0
		.amdhsa_system_vgpr_workitem_id 0
		.amdhsa_next_free_vgpr 43
		.amdhsa_next_free_sgpr 16
		.amdhsa_reserve_vcc 1
		.amdhsa_float_round_mode_32 0
		.amdhsa_float_round_mode_16_64 0
		.amdhsa_float_denorm_mode_32 3
		.amdhsa_float_denorm_mode_16_64 3
		.amdhsa_dx10_clamp 1
		.amdhsa_ieee_mode 1
		.amdhsa_fp16_overflow 0
		.amdhsa_workgroup_processor_mode 1
		.amdhsa_memory_ordered 1
		.amdhsa_forward_progress 0
		.amdhsa_shared_vgpr_count 0
		.amdhsa_exception_fp_ieee_invalid_op 0
		.amdhsa_exception_fp_denorm_src 0
		.amdhsa_exception_fp_ieee_div_zero 0
		.amdhsa_exception_fp_ieee_overflow 0
		.amdhsa_exception_fp_ieee_underflow 0
		.amdhsa_exception_fp_ieee_inexact 0
		.amdhsa_exception_int_div_zero 0
	.end_amdhsa_kernel
	.section	.text._ZN9rocsparseL48gtsv_nopivot_strided_batch_cr_pow2_stage2_kernelILj256EdEEviiiPKT0_S3_S3_S3_PS1_,"axG",@progbits,_ZN9rocsparseL48gtsv_nopivot_strided_batch_cr_pow2_stage2_kernelILj256EdEEviiiPKT0_S3_S3_S3_PS1_,comdat
.Lfunc_end39:
	.size	_ZN9rocsparseL48gtsv_nopivot_strided_batch_cr_pow2_stage2_kernelILj256EdEEviiiPKT0_S3_S3_S3_PS1_, .Lfunc_end39-_ZN9rocsparseL48gtsv_nopivot_strided_batch_cr_pow2_stage2_kernelILj256EdEEviiiPKT0_S3_S3_S3_PS1_
                                        ; -- End function
	.section	.AMDGPU.csdata,"",@progbits
; Kernel info:
; codeLenInByte = 6440
; NumSgprs: 18
; NumVgprs: 43
; ScratchSize: 0
; MemoryBound: 0
; FloatMode: 240
; IeeeMode: 1
; LDSByteSize: 20480 bytes/workgroup (compile time only)
; SGPRBlocks: 2
; VGPRBlocks: 5
; NumSGPRsForWavesPerEU: 18
; NumVGPRsForWavesPerEU: 43
; Occupancy: 12
; WaveLimiterHint : 0
; COMPUTE_PGM_RSRC2:SCRATCH_EN: 0
; COMPUTE_PGM_RSRC2:USER_SGPR: 14
; COMPUTE_PGM_RSRC2:TRAP_HANDLER: 0
; COMPUTE_PGM_RSRC2:TGID_X_EN: 1
; COMPUTE_PGM_RSRC2:TGID_Y_EN: 1
; COMPUTE_PGM_RSRC2:TGID_Z_EN: 0
; COMPUTE_PGM_RSRC2:TIDIG_COMP_CNT: 0
	.section	.text._ZN9rocsparseL44gtsv_nopivot_strided_batch_pcr_stage1_kernelILj256EdEEviiiiPKT0_S3_S3_S3_PS1_S4_S4_S4_,"axG",@progbits,_ZN9rocsparseL44gtsv_nopivot_strided_batch_pcr_stage1_kernelILj256EdEEviiiiPKT0_S3_S3_S3_PS1_S4_S4_S4_,comdat
	.globl	_ZN9rocsparseL44gtsv_nopivot_strided_batch_pcr_stage1_kernelILj256EdEEviiiiPKT0_S3_S3_S3_PS1_S4_S4_S4_ ; -- Begin function _ZN9rocsparseL44gtsv_nopivot_strided_batch_pcr_stage1_kernelILj256EdEEviiiiPKT0_S3_S3_S3_PS1_S4_S4_S4_
	.p2align	8
	.type	_ZN9rocsparseL44gtsv_nopivot_strided_batch_pcr_stage1_kernelILj256EdEEviiiiPKT0_S3_S3_S3_PS1_S4_S4_S4_,@function
_ZN9rocsparseL44gtsv_nopivot_strided_batch_pcr_stage1_kernelILj256EdEEviiiiPKT0_S3_S3_S3_PS1_S4_S4_S4_: ; @_ZN9rocsparseL44gtsv_nopivot_strided_batch_pcr_stage1_kernelILj256EdEEviiiiPKT0_S3_S3_S3_PS1_S4_S4_S4_
; %bb.0:
	s_load_b64 s[8:9], s[0:1], 0x0
	v_lshl_or_b32 v0, s14, 8, v0
	s_mov_b32 s2, exec_lo
	s_waitcnt lgkmcnt(0)
	s_delay_alu instid0(VALU_DEP_1)
	v_cmpx_gt_i32_e64 s9, v0
	s_cbranch_execz .LBB40_2
; %bb.1:
	s_clause 0x2
	s_load_b32 s11, s[0:1], 0xc
	s_load_b256 s[16:23], s[0:1], 0x10
	s_load_b256 s[0:7], s[0:1], 0x30
	v_subrev_nc_u32_e32 v2, s8, v0
	v_ashrrev_i32_e32 v1, 31, v0
	v_mov_b32_e32 v3, 0
	s_mul_i32 s10, s15, s9
	s_delay_alu instid0(VALU_DEP_3) | instskip(NEXT) | instid1(VALU_DEP_3)
	v_max_i32_e32 v2, 0, v2
	v_lshlrev_b64 v[4:5], 3, v[0:1]
	v_add_nc_u32_e32 v0, s8, v0
	s_delay_alu instid0(VALU_DEP_3) | instskip(SKIP_2) | instid1(SALU_CYCLE_1)
	v_lshlrev_b64 v[1:2], 3, v[2:3]
	s_waitcnt lgkmcnt(0)
	s_mul_i32 s12, s15, s11
	s_ashr_i32 s13, s12, 31
	s_delay_alu instid0(SALU_CYCLE_1) | instskip(NEXT) | instid1(SALU_CYCLE_1)
	s_lshl_b64 s[12:13], s[12:13], 3
	s_add_u32 s14, s16, s12
	s_addc_u32 s15, s17, s13
	s_ashr_i32 s11, s10, 31
	v_add_co_u32 v6, vcc_lo, s14, v4
	s_lshl_b64 s[10:11], s[10:11], 3
	v_add_co_ci_u32_e32 v7, vcc_lo, s15, v5, vcc_lo
	s_add_u32 s16, s0, s10
	s_addc_u32 s1, s1, s11
	s_add_u32 s0, s18, s12
	s_addc_u32 s17, s19, s13
	v_add_co_u32 v8, vcc_lo, s0, v1
	v_add_co_ci_u32_e32 v9, vcc_lo, s17, v2, vcc_lo
	global_load_b64 v[6:7], v[6:7], off
	s_add_u32 s2, s2, s10
	s_addc_u32 s3, s3, s11
	global_load_b64 v[8:9], v[8:9], off
	s_add_u32 s8, s20, s12
	s_addc_u32 s18, s21, s13
	s_add_u32 s4, s4, s10
	s_addc_u32 s5, s5, s11
	s_add_u32 s12, s22, s12
	v_cmp_gt_i32_e32 vcc_lo, s9, v0
	s_addc_u32 s13, s23, s13
	s_add_u32 s6, s6, s10
	s_addc_u32 s7, s7, s11
	s_add_i32 s10, s9, -1
	s_delay_alu instid0(SALU_CYCLE_1) | instskip(SKIP_2) | instid1(VALU_DEP_3)
	v_cndmask_b32_e32 v10, s10, v0, vcc_lo
	v_add_co_u32 v12, vcc_lo, s8, v4
	v_add_co_ci_u32_e32 v13, vcc_lo, s18, v5, vcc_lo
	v_ashrrev_i32_e32 v11, 31, v10
	s_delay_alu instid0(VALU_DEP_1) | instskip(NEXT) | instid1(VALU_DEP_1)
	v_lshlrev_b64 v[10:11], 3, v[10:11]
	v_add_co_u32 v14, vcc_lo, s0, v10
	s_delay_alu instid0(VALU_DEP_2)
	v_add_co_ci_u32_e32 v15, vcc_lo, s17, v11, vcc_lo
	global_load_b64 v[12:13], v[12:13], off
	global_load_b64 v[14:15], v[14:15], off
	v_add_co_u32 v22, vcc_lo, s0, v4
	v_add_co_ci_u32_e32 v23, vcc_lo, s17, v5, vcc_lo
	v_add_co_u32 v24, vcc_lo, s8, v1
	v_add_co_ci_u32_e32 v25, vcc_lo, s18, v2, vcc_lo
	;; [unrolled: 2-line block ×4, first 2 shown]
	global_load_b64 v[22:23], v[22:23], off
	global_load_b64 v[24:25], v[24:25], off
	s_clause 0x1
	global_load_b64 v[26:27], v[26:27], off
	global_load_b64 v[28:29], v[28:29], off
	v_add_co_u32 v34, vcc_lo, s12, v10
	v_add_co_ci_u32_e32 v35, vcc_lo, s13, v11, vcc_lo
	v_add_co_u32 v0, vcc_lo, s14, v1
	v_add_co_ci_u32_e32 v1, vcc_lo, s15, v2, vcc_lo
	;; [unrolled: 2-line block ×4, first 2 shown]
	s_clause 0x1
	global_load_b64 v[0:1], v[0:1], off
	global_load_b64 v[2:3], v[2:3], off
	;; [unrolled: 1-line block ×4, first 2 shown]
	s_waitcnt vmcnt(10)
	v_div_scale_f64 v[16:17], null, v[8:9], v[8:9], v[6:7]
	v_div_scale_f64 v[38:39], vcc_lo, v[6:7], v[8:9], v[6:7]
	s_waitcnt vmcnt(8)
	v_div_scale_f64 v[18:19], null, v[14:15], v[14:15], v[12:13]
	s_delay_alu instid0(VALU_DEP_3) | instskip(NEXT) | instid1(VALU_DEP_1)
	v_rcp_f64_e32 v[20:21], v[16:17]
	v_rcp_f64_e32 v[30:31], v[18:19]
	s_waitcnt_depctr 0xfff
	v_fma_f64 v[32:33], -v[16:17], v[20:21], 1.0
	v_fma_f64 v[36:37], -v[18:19], v[30:31], 1.0
	s_delay_alu instid0(VALU_DEP_2) | instskip(NEXT) | instid1(VALU_DEP_2)
	v_fma_f64 v[20:21], v[20:21], v[32:33], v[20:21]
	v_fma_f64 v[30:31], v[30:31], v[36:37], v[30:31]
	s_delay_alu instid0(VALU_DEP_2) | instskip(NEXT) | instid1(VALU_DEP_2)
	v_fma_f64 v[32:33], -v[16:17], v[20:21], 1.0
	v_fma_f64 v[36:37], -v[18:19], v[30:31], 1.0
	s_delay_alu instid0(VALU_DEP_2) | instskip(SKIP_1) | instid1(VALU_DEP_3)
	v_fma_f64 v[20:21], v[20:21], v[32:33], v[20:21]
	v_div_scale_f64 v[32:33], s0, v[12:13], v[14:15], v[12:13]
	v_fma_f64 v[30:31], v[30:31], v[36:37], v[30:31]
	s_delay_alu instid0(VALU_DEP_3) | instskip(NEXT) | instid1(VALU_DEP_2)
	v_mul_f64 v[36:37], v[38:39], v[20:21]
	v_mul_f64 v[40:41], v[32:33], v[30:31]
	s_delay_alu instid0(VALU_DEP_2) | instskip(NEXT) | instid1(VALU_DEP_2)
	v_fma_f64 v[16:17], -v[16:17], v[36:37], v[38:39]
	v_fma_f64 v[18:19], -v[18:19], v[40:41], v[32:33]
	s_delay_alu instid0(VALU_DEP_2) | instskip(SKIP_1) | instid1(VALU_DEP_2)
	v_div_fmas_f64 v[16:17], v[16:17], v[20:21], v[36:37]
	s_mov_b32 vcc_lo, s0
	v_div_fmas_f64 v[18:19], v[18:19], v[30:31], v[40:41]
	s_delay_alu instid0(VALU_DEP_2) | instskip(NEXT) | instid1(VALU_DEP_2)
	v_div_fixup_f64 v[6:7], v[16:17], v[8:9], v[6:7]
	v_div_fixup_f64 v[8:9], v[18:19], v[14:15], v[12:13]
	s_waitcnt vmcnt(6)
	s_delay_alu instid0(VALU_DEP_2)
	v_fma_f64 v[12:13], -v[6:7], v[24:25], v[22:23]
	s_waitcnt vmcnt(4)
	v_fma_f64 v[14:15], -v[6:7], v[28:29], v[26:27]
	s_waitcnt vmcnt(3)
	v_mul_f64 v[0:1], v[6:7], -v[0:1]
	s_waitcnt vmcnt(2)
	s_delay_alu instid0(VALU_DEP_3) | instskip(SKIP_1) | instid1(VALU_DEP_3)
	v_fma_f64 v[2:3], -v[8:9], v[2:3], v[12:13]
	s_waitcnt vmcnt(1)
	v_fma_f64 v[6:7], -v[34:35], v[8:9], v[14:15]
	s_waitcnt vmcnt(0)
	v_mul_f64 v[8:9], v[8:9], -v[10:11]
	v_add_co_u32 v10, vcc_lo, s16, v4
	v_add_co_ci_u32_e32 v11, vcc_lo, s1, v5, vcc_lo
	v_add_co_u32 v12, vcc_lo, s2, v4
	v_add_co_ci_u32_e32 v13, vcc_lo, s3, v5, vcc_lo
	;; [unrolled: 2-line block ×4, first 2 shown]
	global_store_b64 v[10:11], v[0:1], off
	global_store_b64 v[12:13], v[2:3], off
	;; [unrolled: 1-line block ×4, first 2 shown]
.LBB40_2:
	s_nop 0
	s_sendmsg sendmsg(MSG_DEALLOC_VGPRS)
	s_endpgm
	.section	.rodata,"a",@progbits
	.p2align	6, 0x0
	.amdhsa_kernel _ZN9rocsparseL44gtsv_nopivot_strided_batch_pcr_stage1_kernelILj256EdEEviiiiPKT0_S3_S3_S3_PS1_S4_S4_S4_
		.amdhsa_group_segment_fixed_size 0
		.amdhsa_private_segment_fixed_size 0
		.amdhsa_kernarg_size 80
		.amdhsa_user_sgpr_count 14
		.amdhsa_user_sgpr_dispatch_ptr 0
		.amdhsa_user_sgpr_queue_ptr 0
		.amdhsa_user_sgpr_kernarg_segment_ptr 1
		.amdhsa_user_sgpr_dispatch_id 0
		.amdhsa_user_sgpr_private_segment_size 0
		.amdhsa_wavefront_size32 1
		.amdhsa_uses_dynamic_stack 0
		.amdhsa_enable_private_segment 0
		.amdhsa_system_sgpr_workgroup_id_x 1
		.amdhsa_system_sgpr_workgroup_id_y 1
		.amdhsa_system_sgpr_workgroup_id_z 0
		.amdhsa_system_sgpr_workgroup_info 0
		.amdhsa_system_vgpr_workitem_id 0
		.amdhsa_next_free_vgpr 42
		.amdhsa_next_free_sgpr 24
		.amdhsa_reserve_vcc 1
		.amdhsa_float_round_mode_32 0
		.amdhsa_float_round_mode_16_64 0
		.amdhsa_float_denorm_mode_32 3
		.amdhsa_float_denorm_mode_16_64 3
		.amdhsa_dx10_clamp 1
		.amdhsa_ieee_mode 1
		.amdhsa_fp16_overflow 0
		.amdhsa_workgroup_processor_mode 1
		.amdhsa_memory_ordered 1
		.amdhsa_forward_progress 0
		.amdhsa_shared_vgpr_count 0
		.amdhsa_exception_fp_ieee_invalid_op 0
		.amdhsa_exception_fp_denorm_src 0
		.amdhsa_exception_fp_ieee_div_zero 0
		.amdhsa_exception_fp_ieee_overflow 0
		.amdhsa_exception_fp_ieee_underflow 0
		.amdhsa_exception_fp_ieee_inexact 0
		.amdhsa_exception_int_div_zero 0
	.end_amdhsa_kernel
	.section	.text._ZN9rocsparseL44gtsv_nopivot_strided_batch_pcr_stage1_kernelILj256EdEEviiiiPKT0_S3_S3_S3_PS1_S4_S4_S4_,"axG",@progbits,_ZN9rocsparseL44gtsv_nopivot_strided_batch_pcr_stage1_kernelILj256EdEEviiiiPKT0_S3_S3_S3_PS1_S4_S4_S4_,comdat
.Lfunc_end40:
	.size	_ZN9rocsparseL44gtsv_nopivot_strided_batch_pcr_stage1_kernelILj256EdEEviiiiPKT0_S3_S3_S3_PS1_S4_S4_S4_, .Lfunc_end40-_ZN9rocsparseL44gtsv_nopivot_strided_batch_pcr_stage1_kernelILj256EdEEviiiiPKT0_S3_S3_S3_PS1_S4_S4_S4_
                                        ; -- End function
	.section	.AMDGPU.csdata,"",@progbits
; Kernel info:
; codeLenInByte = 880
; NumSgprs: 26
; NumVgprs: 42
; ScratchSize: 0
; MemoryBound: 0
; FloatMode: 240
; IeeeMode: 1
; LDSByteSize: 0 bytes/workgroup (compile time only)
; SGPRBlocks: 3
; VGPRBlocks: 5
; NumSGPRsForWavesPerEU: 26
; NumVGPRsForWavesPerEU: 42
; Occupancy: 16
; WaveLimiterHint : 0
; COMPUTE_PGM_RSRC2:SCRATCH_EN: 0
; COMPUTE_PGM_RSRC2:USER_SGPR: 14
; COMPUTE_PGM_RSRC2:TRAP_HANDLER: 0
; COMPUTE_PGM_RSRC2:TGID_X_EN: 1
; COMPUTE_PGM_RSRC2:TGID_Y_EN: 1
; COMPUTE_PGM_RSRC2:TGID_Z_EN: 0
; COMPUTE_PGM_RSRC2:TIDIG_COMP_CNT: 0
	.section	.text._ZN9rocsparseL44gtsv_nopivot_strided_batch_pcr_stage2_kernelILj512EdEEviiiPKT0_S3_S3_S3_PS1_,"axG",@progbits,_ZN9rocsparseL44gtsv_nopivot_strided_batch_pcr_stage2_kernelILj512EdEEviiiPKT0_S3_S3_S3_PS1_,comdat
	.globl	_ZN9rocsparseL44gtsv_nopivot_strided_batch_pcr_stage2_kernelILj512EdEEviiiPKT0_S3_S3_S3_PS1_ ; -- Begin function _ZN9rocsparseL44gtsv_nopivot_strided_batch_pcr_stage2_kernelILj512EdEEviiiPKT0_S3_S3_S3_PS1_
	.p2align	8
	.type	_ZN9rocsparseL44gtsv_nopivot_strided_batch_pcr_stage2_kernelILj512EdEEviiiPKT0_S3_S3_S3_PS1_,@function
_ZN9rocsparseL44gtsv_nopivot_strided_batch_pcr_stage2_kernelILj512EdEEviiiPKT0_S3_S3_S3_PS1_: ; @_ZN9rocsparseL44gtsv_nopivot_strided_batch_pcr_stage2_kernelILj512EdEEviiiPKT0_S3_S3_S3_PS1_
; %bb.0:
	s_clause 0x2
	s_load_b32 s2, s[0:1], 0x38
	s_load_b32 s3, s[0:1], 0x0
	s_load_b256 s[4:11], s[0:1], 0x10
	v_mov_b32_e32 v3, 0
	s_waitcnt lgkmcnt(0)
	v_mad_u64_u32 v[1:2], null, s2, v0, s[14:15]
	s_mul_i32 s12, s15, s3
	s_add_i32 s13, s14, s3
	s_delay_alu instid0(SALU_CYCLE_1) | instskip(NEXT) | instid1(VALU_DEP_1)
	s_add_i32 s13, s13, s12
	v_add_nc_u32_e32 v2, s12, v1
	s_sub_i32 s12, s13, s2
	v_cmp_gt_i32_e64 s2, s3, v1
	s_delay_alu instid0(VALU_DEP_1) | instskip(NEXT) | instid1(VALU_DEP_1)
	v_cndmask_b32_e64 v2, s12, v2, s2
	v_lshlrev_b64 v[2:3], 3, v[2:3]
	s_delay_alu instid0(VALU_DEP_1) | instskip(NEXT) | instid1(VALU_DEP_2)
	v_add_co_u32 v4, vcc_lo, s4, v2
	v_add_co_ci_u32_e32 v5, vcc_lo, s5, v3, vcc_lo
	v_add_co_u32 v6, vcc_lo, s6, v2
	v_add_co_ci_u32_e32 v7, vcc_lo, s7, v3, vcc_lo
	;; [unrolled: 2-line block ×4, first 2 shown]
	global_load_b64 v[4:5], v[4:5], off
	global_load_b64 v[6:7], v[6:7], off
	;; [unrolled: 1-line block ×4, first 2 shown]
	v_max_u32_e32 v2, 1, v0
	s_delay_alu instid0(VALU_DEP_1)
	v_lshlrev_b32_e32 v35, 3, v2
	v_lshlrev_b32_e32 v2, 3, v0
	s_waitcnt vmcnt(2)
	ds_store_2addr_stride64_b64 v2, v[4:5], v[6:7] offset1:8
	s_waitcnt vmcnt(0)
	ds_store_2addr_stride64_b64 v2, v[8:9], v[10:11] offset0:16 offset1:32
	v_add_nc_u32_e32 v12, 0x1f8, v35
	s_waitcnt lgkmcnt(0)
	s_barrier
	buffer_gl0_inv
	ds_load_2addr_stride64_b64 v[3:6], v2 offset1:8
	ds_load_2addr_stride64_b64 v[7:10], v12 offset0:7 offset1:15
	v_min_u32_e32 v11, 0x1fe, v0
	s_delay_alu instid0(VALU_DEP_1) | instskip(NEXT) | instid1(VALU_DEP_1)
	v_lshlrev_b32_e32 v11, 3, v11
	v_add_nc_u32_e32 v36, 8, v11
	ds_load_2addr_stride64_b64 v[11:14], v2 offset0:16 offset1:32
	ds_load_2addr_stride64_b64 v[15:18], v36 offset1:8
	s_waitcnt lgkmcnt(2)
	v_div_scale_f64 v[19:20], null, v[7:8], v[7:8], v[3:4]
	v_div_scale_f64 v[31:32], vcc_lo, v[3:4], v[7:8], v[3:4]
	s_waitcnt lgkmcnt(0)
	v_div_scale_f64 v[21:22], null, v[17:18], v[17:18], v[11:12]
	s_delay_alu instid0(VALU_DEP_3) | instskip(NEXT) | instid1(VALU_DEP_1)
	v_rcp_f64_e32 v[23:24], v[19:20]
	v_rcp_f64_e32 v[25:26], v[21:22]
	s_waitcnt_depctr 0xfff
	v_fma_f64 v[27:28], -v[19:20], v[23:24], 1.0
	v_fma_f64 v[29:30], -v[21:22], v[25:26], 1.0
	s_delay_alu instid0(VALU_DEP_2) | instskip(NEXT) | instid1(VALU_DEP_2)
	v_fma_f64 v[23:24], v[23:24], v[27:28], v[23:24]
	v_fma_f64 v[25:26], v[25:26], v[29:30], v[25:26]
	s_delay_alu instid0(VALU_DEP_2) | instskip(NEXT) | instid1(VALU_DEP_2)
	v_fma_f64 v[27:28], -v[19:20], v[23:24], 1.0
	v_fma_f64 v[29:30], -v[21:22], v[25:26], 1.0
	s_delay_alu instid0(VALU_DEP_2) | instskip(SKIP_1) | instid1(VALU_DEP_3)
	v_fma_f64 v[23:24], v[23:24], v[27:28], v[23:24]
	v_div_scale_f64 v[27:28], s3, v[11:12], v[17:18], v[11:12]
	v_fma_f64 v[25:26], v[25:26], v[29:30], v[25:26]
	s_delay_alu instid0(VALU_DEP_3) | instskip(NEXT) | instid1(VALU_DEP_2)
	v_mul_f64 v[29:30], v[31:32], v[23:24]
	v_mul_f64 v[33:34], v[27:28], v[25:26]
	s_delay_alu instid0(VALU_DEP_2) | instskip(NEXT) | instid1(VALU_DEP_2)
	v_fma_f64 v[19:20], -v[19:20], v[29:30], v[31:32]
	v_fma_f64 v[21:22], -v[21:22], v[33:34], v[27:28]
	s_delay_alu instid0(VALU_DEP_2) | instskip(SKIP_1) | instid1(VALU_DEP_2)
	v_div_fmas_f64 v[19:20], v[19:20], v[23:24], v[29:30]
	s_mov_b32 vcc_lo, s3
	v_div_fmas_f64 v[21:22], v[21:22], v[25:26], v[33:34]
	s_delay_alu instid0(VALU_DEP_2)
	v_div_fixup_f64 v[7:8], v[19:20], v[7:8], v[3:4]
	ds_load_b64 v[3:4], v35 offset:16376
	v_add_nc_u32_e32 v19, -8, v35
	ds_load_b64 v[19:20], v19
	v_div_fixup_f64 v[11:12], v[21:22], v[17:18], v[11:12]
	v_fma_f64 v[9:10], -v[7:8], v[9:10], v[5:6]
	s_waitcnt lgkmcnt(1)
	v_fma_f64 v[13:14], -v[7:8], v[3:4], v[13:14]
	ds_load_2addr_stride64_b64 v[3:6], v36 offset0:16 offset1:32
	s_waitcnt lgkmcnt(1)
	v_mul_f64 v[7:8], v[7:8], -v[19:20]
	s_waitcnt lgkmcnt(0)
	s_barrier
	buffer_gl0_inv
	v_mul_f64 v[3:4], v[11:12], -v[3:4]
	v_fma_f64 v[9:10], -v[11:12], v[15:16], v[9:10]
	v_fma_f64 v[5:6], -v[11:12], v[5:6], v[13:14]
	v_max_u32_e32 v11, 2, v0
	ds_store_2addr_stride64_b64 v2, v[7:8], v[9:10] offset1:8
	ds_store_2addr_stride64_b64 v2, v[3:4], v[5:6] offset0:16 offset1:32
	v_lshlrev_b32_e32 v35, 3, v11
	s_waitcnt lgkmcnt(0)
	s_barrier
	buffer_gl0_inv
	v_add_nc_u32_e32 v11, 0x1f0, v35
	ds_load_2addr_stride64_b64 v[3:6], v2 offset1:8
	ds_load_2addr_stride64_b64 v[7:10], v11 offset0:7 offset1:15
	v_min_u32_e32 v11, 0x1fd, v0
	s_delay_alu instid0(VALU_DEP_1) | instskip(NEXT) | instid1(VALU_DEP_1)
	v_lshlrev_b32_e32 v11, 3, v11
	v_add_nc_u32_e32 v36, 16, v11
	ds_load_2addr_stride64_b64 v[11:14], v2 offset0:16 offset1:32
	ds_load_2addr_stride64_b64 v[15:18], v36 offset1:8
	s_waitcnt lgkmcnt(2)
	v_div_scale_f64 v[19:20], null, v[7:8], v[7:8], v[3:4]
	v_div_scale_f64 v[31:32], vcc_lo, v[3:4], v[7:8], v[3:4]
	s_waitcnt lgkmcnt(0)
	v_div_scale_f64 v[21:22], null, v[17:18], v[17:18], v[11:12]
	s_delay_alu instid0(VALU_DEP_3) | instskip(NEXT) | instid1(VALU_DEP_1)
	v_rcp_f64_e32 v[23:24], v[19:20]
	v_rcp_f64_e32 v[25:26], v[21:22]
	s_waitcnt_depctr 0xfff
	v_fma_f64 v[27:28], -v[19:20], v[23:24], 1.0
	v_fma_f64 v[29:30], -v[21:22], v[25:26], 1.0
	s_delay_alu instid0(VALU_DEP_2) | instskip(NEXT) | instid1(VALU_DEP_2)
	v_fma_f64 v[23:24], v[23:24], v[27:28], v[23:24]
	v_fma_f64 v[25:26], v[25:26], v[29:30], v[25:26]
	s_delay_alu instid0(VALU_DEP_2) | instskip(NEXT) | instid1(VALU_DEP_2)
	v_fma_f64 v[27:28], -v[19:20], v[23:24], 1.0
	v_fma_f64 v[29:30], -v[21:22], v[25:26], 1.0
	s_delay_alu instid0(VALU_DEP_2) | instskip(SKIP_1) | instid1(VALU_DEP_3)
	v_fma_f64 v[23:24], v[23:24], v[27:28], v[23:24]
	v_div_scale_f64 v[27:28], s3, v[11:12], v[17:18], v[11:12]
	v_fma_f64 v[25:26], v[25:26], v[29:30], v[25:26]
	s_delay_alu instid0(VALU_DEP_3) | instskip(NEXT) | instid1(VALU_DEP_2)
	v_mul_f64 v[29:30], v[31:32], v[23:24]
	v_mul_f64 v[33:34], v[27:28], v[25:26]
	s_delay_alu instid0(VALU_DEP_2) | instskip(NEXT) | instid1(VALU_DEP_2)
	v_fma_f64 v[19:20], -v[19:20], v[29:30], v[31:32]
	v_fma_f64 v[21:22], -v[21:22], v[33:34], v[27:28]
	s_delay_alu instid0(VALU_DEP_2) | instskip(SKIP_1) | instid1(VALU_DEP_2)
	v_div_fmas_f64 v[19:20], v[19:20], v[23:24], v[29:30]
	s_mov_b32 vcc_lo, s3
	v_div_fmas_f64 v[21:22], v[21:22], v[25:26], v[33:34]
	s_delay_alu instid0(VALU_DEP_2)
	v_div_fixup_f64 v[7:8], v[19:20], v[7:8], v[3:4]
	ds_load_b64 v[3:4], v35 offset:16368
	v_add_nc_u32_e32 v19, -16, v35
	ds_load_b64 v[19:20], v19
	v_div_fixup_f64 v[11:12], v[21:22], v[17:18], v[11:12]
	v_fma_f64 v[9:10], -v[7:8], v[9:10], v[5:6]
	s_waitcnt lgkmcnt(1)
	v_fma_f64 v[13:14], -v[7:8], v[3:4], v[13:14]
	ds_load_2addr_stride64_b64 v[3:6], v36 offset0:16 offset1:32
	s_waitcnt lgkmcnt(1)
	v_mul_f64 v[7:8], v[7:8], -v[19:20]
	s_waitcnt lgkmcnt(0)
	s_barrier
	buffer_gl0_inv
	v_mul_f64 v[3:4], v[11:12], -v[3:4]
	v_fma_f64 v[9:10], -v[11:12], v[15:16], v[9:10]
	v_fma_f64 v[5:6], -v[11:12], v[5:6], v[13:14]
	v_max_u32_e32 v11, 4, v0
	ds_store_2addr_stride64_b64 v2, v[7:8], v[9:10] offset1:8
	ds_store_2addr_stride64_b64 v2, v[3:4], v[5:6] offset0:16 offset1:32
	v_lshlrev_b32_e32 v35, 3, v11
	s_waitcnt lgkmcnt(0)
	s_barrier
	buffer_gl0_inv
	v_add_nc_u32_e32 v11, 0x1e0, v35
	ds_load_2addr_stride64_b64 v[3:6], v2 offset1:8
	ds_load_2addr_stride64_b64 v[7:10], v11 offset0:7 offset1:15
	v_min_u32_e32 v11, 0x1fb, v0
	s_delay_alu instid0(VALU_DEP_1) | instskip(NEXT) | instid1(VALU_DEP_1)
	v_lshlrev_b32_e32 v11, 3, v11
	v_add_nc_u32_e32 v36, 32, v11
	ds_load_2addr_stride64_b64 v[11:14], v2 offset0:16 offset1:32
	ds_load_2addr_stride64_b64 v[15:18], v36 offset1:8
	s_waitcnt lgkmcnt(2)
	v_div_scale_f64 v[19:20], null, v[7:8], v[7:8], v[3:4]
	v_div_scale_f64 v[31:32], vcc_lo, v[3:4], v[7:8], v[3:4]
	s_waitcnt lgkmcnt(0)
	v_div_scale_f64 v[21:22], null, v[17:18], v[17:18], v[11:12]
	s_delay_alu instid0(VALU_DEP_3) | instskip(NEXT) | instid1(VALU_DEP_1)
	v_rcp_f64_e32 v[23:24], v[19:20]
	v_rcp_f64_e32 v[25:26], v[21:22]
	s_waitcnt_depctr 0xfff
	v_fma_f64 v[27:28], -v[19:20], v[23:24], 1.0
	v_fma_f64 v[29:30], -v[21:22], v[25:26], 1.0
	s_delay_alu instid0(VALU_DEP_2) | instskip(NEXT) | instid1(VALU_DEP_2)
	v_fma_f64 v[23:24], v[23:24], v[27:28], v[23:24]
	v_fma_f64 v[25:26], v[25:26], v[29:30], v[25:26]
	s_delay_alu instid0(VALU_DEP_2) | instskip(NEXT) | instid1(VALU_DEP_2)
	v_fma_f64 v[27:28], -v[19:20], v[23:24], 1.0
	v_fma_f64 v[29:30], -v[21:22], v[25:26], 1.0
	s_delay_alu instid0(VALU_DEP_2) | instskip(SKIP_1) | instid1(VALU_DEP_3)
	v_fma_f64 v[23:24], v[23:24], v[27:28], v[23:24]
	v_div_scale_f64 v[27:28], s3, v[11:12], v[17:18], v[11:12]
	v_fma_f64 v[25:26], v[25:26], v[29:30], v[25:26]
	s_delay_alu instid0(VALU_DEP_3) | instskip(NEXT) | instid1(VALU_DEP_2)
	v_mul_f64 v[29:30], v[31:32], v[23:24]
	v_mul_f64 v[33:34], v[27:28], v[25:26]
	s_delay_alu instid0(VALU_DEP_2) | instskip(NEXT) | instid1(VALU_DEP_2)
	v_fma_f64 v[19:20], -v[19:20], v[29:30], v[31:32]
	v_fma_f64 v[21:22], -v[21:22], v[33:34], v[27:28]
	s_delay_alu instid0(VALU_DEP_2) | instskip(SKIP_1) | instid1(VALU_DEP_2)
	v_div_fmas_f64 v[19:20], v[19:20], v[23:24], v[29:30]
	s_mov_b32 vcc_lo, s3
	v_div_fmas_f64 v[21:22], v[21:22], v[25:26], v[33:34]
	s_delay_alu instid0(VALU_DEP_2)
	v_div_fixup_f64 v[7:8], v[19:20], v[7:8], v[3:4]
	ds_load_b64 v[3:4], v35 offset:16352
	v_subrev_nc_u32_e32 v19, 32, v35
	ds_load_b64 v[19:20], v19
	v_div_fixup_f64 v[11:12], v[21:22], v[17:18], v[11:12]
	v_fma_f64 v[9:10], -v[7:8], v[9:10], v[5:6]
	s_waitcnt lgkmcnt(1)
	v_fma_f64 v[13:14], -v[7:8], v[3:4], v[13:14]
	ds_load_2addr_stride64_b64 v[3:6], v36 offset0:16 offset1:32
	s_waitcnt lgkmcnt(1)
	v_mul_f64 v[7:8], v[7:8], -v[19:20]
	s_waitcnt lgkmcnt(0)
	s_barrier
	buffer_gl0_inv
	v_mul_f64 v[3:4], v[11:12], -v[3:4]
	v_fma_f64 v[9:10], -v[11:12], v[15:16], v[9:10]
	v_fma_f64 v[5:6], -v[11:12], v[5:6], v[13:14]
	v_max_u32_e32 v11, 8, v0
	ds_store_2addr_stride64_b64 v2, v[7:8], v[9:10] offset1:8
	ds_store_2addr_stride64_b64 v2, v[3:4], v[5:6] offset0:16 offset1:32
	v_lshlrev_b32_e32 v35, 3, v11
	s_waitcnt lgkmcnt(0)
	s_barrier
	buffer_gl0_inv
	v_add_nc_u32_e32 v11, 0x1c0, v35
	ds_load_2addr_stride64_b64 v[3:6], v2 offset1:8
	ds_load_2addr_stride64_b64 v[7:10], v11 offset0:7 offset1:15
	v_min_u32_e32 v11, 0x1f7, v0
	s_delay_alu instid0(VALU_DEP_1) | instskip(NEXT) | instid1(VALU_DEP_1)
	v_lshlrev_b32_e32 v11, 3, v11
	v_add_nc_u32_e32 v36, 64, v11
	ds_load_2addr_stride64_b64 v[11:14], v2 offset0:16 offset1:32
	ds_load_2addr_stride64_b64 v[15:18], v36 offset1:8
	s_waitcnt lgkmcnt(2)
	v_div_scale_f64 v[19:20], null, v[7:8], v[7:8], v[3:4]
	v_div_scale_f64 v[31:32], vcc_lo, v[3:4], v[7:8], v[3:4]
	s_waitcnt lgkmcnt(0)
	v_div_scale_f64 v[21:22], null, v[17:18], v[17:18], v[11:12]
	s_delay_alu instid0(VALU_DEP_3) | instskip(NEXT) | instid1(VALU_DEP_1)
	v_rcp_f64_e32 v[23:24], v[19:20]
	v_rcp_f64_e32 v[25:26], v[21:22]
	s_waitcnt_depctr 0xfff
	v_fma_f64 v[27:28], -v[19:20], v[23:24], 1.0
	v_fma_f64 v[29:30], -v[21:22], v[25:26], 1.0
	s_delay_alu instid0(VALU_DEP_2) | instskip(NEXT) | instid1(VALU_DEP_2)
	v_fma_f64 v[23:24], v[23:24], v[27:28], v[23:24]
	v_fma_f64 v[25:26], v[25:26], v[29:30], v[25:26]
	s_delay_alu instid0(VALU_DEP_2) | instskip(NEXT) | instid1(VALU_DEP_2)
	v_fma_f64 v[27:28], -v[19:20], v[23:24], 1.0
	v_fma_f64 v[29:30], -v[21:22], v[25:26], 1.0
	s_delay_alu instid0(VALU_DEP_2) | instskip(SKIP_1) | instid1(VALU_DEP_3)
	v_fma_f64 v[23:24], v[23:24], v[27:28], v[23:24]
	v_div_scale_f64 v[27:28], s3, v[11:12], v[17:18], v[11:12]
	v_fma_f64 v[25:26], v[25:26], v[29:30], v[25:26]
	s_delay_alu instid0(VALU_DEP_3) | instskip(NEXT) | instid1(VALU_DEP_2)
	v_mul_f64 v[29:30], v[31:32], v[23:24]
	v_mul_f64 v[33:34], v[27:28], v[25:26]
	s_delay_alu instid0(VALU_DEP_2) | instskip(NEXT) | instid1(VALU_DEP_2)
	v_fma_f64 v[19:20], -v[19:20], v[29:30], v[31:32]
	v_fma_f64 v[21:22], -v[21:22], v[33:34], v[27:28]
	s_delay_alu instid0(VALU_DEP_2) | instskip(SKIP_1) | instid1(VALU_DEP_2)
	v_div_fmas_f64 v[19:20], v[19:20], v[23:24], v[29:30]
	s_mov_b32 vcc_lo, s3
	v_div_fmas_f64 v[21:22], v[21:22], v[25:26], v[33:34]
	s_delay_alu instid0(VALU_DEP_2)
	v_div_fixup_f64 v[7:8], v[19:20], v[7:8], v[3:4]
	ds_load_b64 v[3:4], v35 offset:16320
	v_subrev_nc_u32_e32 v19, 64, v35
	ds_load_b64 v[19:20], v19
	v_div_fixup_f64 v[11:12], v[21:22], v[17:18], v[11:12]
	v_fma_f64 v[9:10], -v[7:8], v[9:10], v[5:6]
	s_waitcnt lgkmcnt(1)
	v_fma_f64 v[13:14], -v[7:8], v[3:4], v[13:14]
	ds_load_2addr_stride64_b64 v[3:6], v36 offset0:16 offset1:32
	s_waitcnt lgkmcnt(1)
	v_mul_f64 v[7:8], v[7:8], -v[19:20]
	s_waitcnt lgkmcnt(0)
	s_barrier
	buffer_gl0_inv
	v_mul_f64 v[3:4], v[11:12], -v[3:4]
	v_fma_f64 v[9:10], -v[11:12], v[15:16], v[9:10]
	v_fma_f64 v[5:6], -v[11:12], v[5:6], v[13:14]
	v_max_u32_e32 v11, 16, v0
	ds_store_2addr_stride64_b64 v2, v[7:8], v[9:10] offset1:8
	ds_store_2addr_stride64_b64 v2, v[3:4], v[5:6] offset0:16 offset1:32
	v_lshlrev_b32_e32 v35, 3, v11
	s_waitcnt lgkmcnt(0)
	s_barrier
	buffer_gl0_inv
	v_add_nc_u32_e32 v11, 0x180, v35
	ds_load_2addr_stride64_b64 v[3:6], v2 offset1:8
	ds_load_2addr_stride64_b64 v[7:10], v11 offset0:7 offset1:15
	v_min_u32_e32 v11, 0x1ef, v0
	s_delay_alu instid0(VALU_DEP_1) | instskip(NEXT) | instid1(VALU_DEP_1)
	v_lshlrev_b32_e32 v11, 3, v11
	v_add_nc_u32_e32 v36, 0x80, v11
	ds_load_2addr_stride64_b64 v[11:14], v2 offset0:16 offset1:32
	ds_load_2addr_stride64_b64 v[15:18], v36 offset1:8
	s_waitcnt lgkmcnt(2)
	v_div_scale_f64 v[19:20], null, v[7:8], v[7:8], v[3:4]
	v_div_scale_f64 v[31:32], vcc_lo, v[3:4], v[7:8], v[3:4]
	s_waitcnt lgkmcnt(0)
	v_div_scale_f64 v[21:22], null, v[17:18], v[17:18], v[11:12]
	s_delay_alu instid0(VALU_DEP_3) | instskip(NEXT) | instid1(VALU_DEP_1)
	v_rcp_f64_e32 v[23:24], v[19:20]
	v_rcp_f64_e32 v[25:26], v[21:22]
	s_waitcnt_depctr 0xfff
	v_fma_f64 v[27:28], -v[19:20], v[23:24], 1.0
	v_fma_f64 v[29:30], -v[21:22], v[25:26], 1.0
	s_delay_alu instid0(VALU_DEP_2) | instskip(NEXT) | instid1(VALU_DEP_2)
	v_fma_f64 v[23:24], v[23:24], v[27:28], v[23:24]
	v_fma_f64 v[25:26], v[25:26], v[29:30], v[25:26]
	s_delay_alu instid0(VALU_DEP_2) | instskip(NEXT) | instid1(VALU_DEP_2)
	v_fma_f64 v[27:28], -v[19:20], v[23:24], 1.0
	v_fma_f64 v[29:30], -v[21:22], v[25:26], 1.0
	s_delay_alu instid0(VALU_DEP_2) | instskip(SKIP_1) | instid1(VALU_DEP_3)
	v_fma_f64 v[23:24], v[23:24], v[27:28], v[23:24]
	v_div_scale_f64 v[27:28], s3, v[11:12], v[17:18], v[11:12]
	v_fma_f64 v[25:26], v[25:26], v[29:30], v[25:26]
	s_delay_alu instid0(VALU_DEP_3) | instskip(NEXT) | instid1(VALU_DEP_2)
	v_mul_f64 v[29:30], v[31:32], v[23:24]
	v_mul_f64 v[33:34], v[27:28], v[25:26]
	s_delay_alu instid0(VALU_DEP_2) | instskip(NEXT) | instid1(VALU_DEP_2)
	v_fma_f64 v[19:20], -v[19:20], v[29:30], v[31:32]
	v_fma_f64 v[21:22], -v[21:22], v[33:34], v[27:28]
	s_delay_alu instid0(VALU_DEP_2) | instskip(SKIP_1) | instid1(VALU_DEP_2)
	v_div_fmas_f64 v[19:20], v[19:20], v[23:24], v[29:30]
	s_mov_b32 vcc_lo, s3
	v_div_fmas_f64 v[21:22], v[21:22], v[25:26], v[33:34]
	s_delay_alu instid0(VALU_DEP_2)
	v_div_fixup_f64 v[7:8], v[19:20], v[7:8], v[3:4]
	ds_load_b64 v[3:4], v35 offset:16256
	v_add_nc_u32_e32 v19, 0xffffff80, v35
	ds_load_b64 v[19:20], v19
	v_div_fixup_f64 v[11:12], v[21:22], v[17:18], v[11:12]
	v_fma_f64 v[9:10], -v[7:8], v[9:10], v[5:6]
	s_waitcnt lgkmcnt(1)
	v_fma_f64 v[13:14], -v[7:8], v[3:4], v[13:14]
	ds_load_2addr_stride64_b64 v[3:6], v36 offset0:16 offset1:32
	s_waitcnt lgkmcnt(1)
	v_mul_f64 v[7:8], v[7:8], -v[19:20]
	s_waitcnt lgkmcnt(0)
	s_barrier
	buffer_gl0_inv
	v_mul_f64 v[3:4], v[11:12], -v[3:4]
	v_fma_f64 v[9:10], -v[11:12], v[15:16], v[9:10]
	v_fma_f64 v[5:6], -v[11:12], v[5:6], v[13:14]
	v_max_u32_e32 v11, 32, v0
	ds_store_2addr_stride64_b64 v2, v[7:8], v[9:10] offset1:8
	ds_store_2addr_stride64_b64 v2, v[3:4], v[5:6] offset0:16 offset1:32
	v_lshlrev_b32_e32 v35, 3, v11
	s_waitcnt lgkmcnt(0)
	s_barrier
	buffer_gl0_inv
	v_add_nc_u32_e32 v11, 0x100, v35
	ds_load_2addr_stride64_b64 v[3:6], v2 offset1:8
	ds_load_2addr_stride64_b64 v[7:10], v11 offset0:7 offset1:15
	v_min_u32_e32 v11, 0x1df, v0
	s_delay_alu instid0(VALU_DEP_1) | instskip(NEXT) | instid1(VALU_DEP_1)
	v_lshlrev_b32_e32 v11, 3, v11
	v_add_nc_u32_e32 v36, 0x100, v11
	ds_load_2addr_stride64_b64 v[11:14], v2 offset0:16 offset1:32
	ds_load_2addr_stride64_b64 v[15:18], v36 offset1:8
	s_waitcnt lgkmcnt(2)
	v_div_scale_f64 v[19:20], null, v[7:8], v[7:8], v[3:4]
	v_div_scale_f64 v[31:32], vcc_lo, v[3:4], v[7:8], v[3:4]
	s_waitcnt lgkmcnt(0)
	v_div_scale_f64 v[21:22], null, v[17:18], v[17:18], v[11:12]
	s_delay_alu instid0(VALU_DEP_3) | instskip(NEXT) | instid1(VALU_DEP_1)
	v_rcp_f64_e32 v[23:24], v[19:20]
	v_rcp_f64_e32 v[25:26], v[21:22]
	s_waitcnt_depctr 0xfff
	v_fma_f64 v[27:28], -v[19:20], v[23:24], 1.0
	v_fma_f64 v[29:30], -v[21:22], v[25:26], 1.0
	s_delay_alu instid0(VALU_DEP_2) | instskip(NEXT) | instid1(VALU_DEP_2)
	v_fma_f64 v[23:24], v[23:24], v[27:28], v[23:24]
	v_fma_f64 v[25:26], v[25:26], v[29:30], v[25:26]
	s_delay_alu instid0(VALU_DEP_2) | instskip(NEXT) | instid1(VALU_DEP_2)
	v_fma_f64 v[27:28], -v[19:20], v[23:24], 1.0
	v_fma_f64 v[29:30], -v[21:22], v[25:26], 1.0
	s_delay_alu instid0(VALU_DEP_2) | instskip(SKIP_1) | instid1(VALU_DEP_3)
	v_fma_f64 v[23:24], v[23:24], v[27:28], v[23:24]
	v_div_scale_f64 v[27:28], s3, v[11:12], v[17:18], v[11:12]
	v_fma_f64 v[25:26], v[25:26], v[29:30], v[25:26]
	s_delay_alu instid0(VALU_DEP_3) | instskip(NEXT) | instid1(VALU_DEP_2)
	v_mul_f64 v[29:30], v[31:32], v[23:24]
	v_mul_f64 v[33:34], v[27:28], v[25:26]
	s_delay_alu instid0(VALU_DEP_2) | instskip(NEXT) | instid1(VALU_DEP_2)
	v_fma_f64 v[19:20], -v[19:20], v[29:30], v[31:32]
	v_fma_f64 v[21:22], -v[21:22], v[33:34], v[27:28]
	s_delay_alu instid0(VALU_DEP_2) | instskip(SKIP_1) | instid1(VALU_DEP_2)
	v_div_fmas_f64 v[19:20], v[19:20], v[23:24], v[29:30]
	s_mov_b32 vcc_lo, s3
	v_div_fmas_f64 v[21:22], v[21:22], v[25:26], v[33:34]
	s_delay_alu instid0(VALU_DEP_2)
	v_div_fixup_f64 v[7:8], v[19:20], v[7:8], v[3:4]
	ds_load_b64 v[3:4], v35 offset:16128
	v_add_nc_u32_e32 v19, 0xffffff00, v35
	ds_load_b64 v[19:20], v19
	v_div_fixup_f64 v[11:12], v[21:22], v[17:18], v[11:12]
	v_fma_f64 v[9:10], -v[7:8], v[9:10], v[5:6]
	s_waitcnt lgkmcnt(1)
	v_fma_f64 v[13:14], -v[7:8], v[3:4], v[13:14]
	ds_load_2addr_stride64_b64 v[3:6], v36 offset0:16 offset1:32
	s_waitcnt lgkmcnt(1)
	v_mul_f64 v[7:8], v[7:8], -v[19:20]
	s_waitcnt lgkmcnt(0)
	s_barrier
	buffer_gl0_inv
	v_mul_f64 v[3:4], v[11:12], -v[3:4]
	v_fma_f64 v[9:10], -v[11:12], v[15:16], v[9:10]
	v_fma_f64 v[5:6], -v[11:12], v[5:6], v[13:14]
	v_max_u32_e32 v11, 64, v0
	ds_store_2addr_stride64_b64 v2, v[7:8], v[9:10] offset1:8
	ds_store_2addr_stride64_b64 v2, v[3:4], v[5:6] offset0:16 offset1:32
	v_lshlrev_b32_e32 v35, 3, v11
	s_waitcnt lgkmcnt(0)
	s_barrier
	buffer_gl0_inv
	ds_load_2addr_stride64_b64 v[3:6], v2 offset1:8
	ds_load_2addr_stride64_b64 v[7:10], v35 offset0:7 offset1:15
	v_min_u32_e32 v11, 0x1bf, v0
	s_delay_alu instid0(VALU_DEP_1)
	v_lshlrev_b32_e32 v36, 3, v11
	ds_load_2addr_stride64_b64 v[11:14], v2 offset0:16 offset1:32
	ds_load_2addr_stride64_b64 v[15:18], v36 offset0:1 offset1:9
	s_waitcnt lgkmcnt(2)
	v_div_scale_f64 v[19:20], null, v[7:8], v[7:8], v[3:4]
	v_div_scale_f64 v[31:32], vcc_lo, v[3:4], v[7:8], v[3:4]
	s_waitcnt lgkmcnt(0)
	v_div_scale_f64 v[21:22], null, v[17:18], v[17:18], v[11:12]
	s_delay_alu instid0(VALU_DEP_3) | instskip(NEXT) | instid1(VALU_DEP_1)
	v_rcp_f64_e32 v[23:24], v[19:20]
	v_rcp_f64_e32 v[25:26], v[21:22]
	s_waitcnt_depctr 0xfff
	v_fma_f64 v[27:28], -v[19:20], v[23:24], 1.0
	v_fma_f64 v[29:30], -v[21:22], v[25:26], 1.0
	s_delay_alu instid0(VALU_DEP_2) | instskip(NEXT) | instid1(VALU_DEP_2)
	v_fma_f64 v[23:24], v[23:24], v[27:28], v[23:24]
	v_fma_f64 v[25:26], v[25:26], v[29:30], v[25:26]
	s_delay_alu instid0(VALU_DEP_2) | instskip(NEXT) | instid1(VALU_DEP_2)
	v_fma_f64 v[27:28], -v[19:20], v[23:24], 1.0
	v_fma_f64 v[29:30], -v[21:22], v[25:26], 1.0
	s_delay_alu instid0(VALU_DEP_2) | instskip(SKIP_1) | instid1(VALU_DEP_3)
	v_fma_f64 v[23:24], v[23:24], v[27:28], v[23:24]
	v_div_scale_f64 v[27:28], s3, v[11:12], v[17:18], v[11:12]
	v_fma_f64 v[25:26], v[25:26], v[29:30], v[25:26]
	s_delay_alu instid0(VALU_DEP_3) | instskip(NEXT) | instid1(VALU_DEP_2)
	v_mul_f64 v[29:30], v[31:32], v[23:24]
	v_mul_f64 v[33:34], v[27:28], v[25:26]
	s_delay_alu instid0(VALU_DEP_2) | instskip(NEXT) | instid1(VALU_DEP_2)
	v_fma_f64 v[19:20], -v[19:20], v[29:30], v[31:32]
	v_fma_f64 v[21:22], -v[21:22], v[33:34], v[27:28]
	s_delay_alu instid0(VALU_DEP_2) | instskip(SKIP_1) | instid1(VALU_DEP_2)
	v_div_fmas_f64 v[19:20], v[19:20], v[23:24], v[29:30]
	s_mov_b32 vcc_lo, s3
	v_div_fmas_f64 v[21:22], v[21:22], v[25:26], v[33:34]
	s_delay_alu instid0(VALU_DEP_2)
	v_div_fixup_f64 v[7:8], v[19:20], v[7:8], v[3:4]
	ds_load_b64 v[3:4], v35 offset:15872
	v_add_nc_u32_e32 v19, 0xfffffe00, v35
	ds_load_b64 v[19:20], v19
	v_div_fixup_f64 v[11:12], v[21:22], v[17:18], v[11:12]
	v_fma_f64 v[9:10], -v[7:8], v[9:10], v[5:6]
	s_waitcnt lgkmcnt(1)
	v_fma_f64 v[13:14], -v[7:8], v[3:4], v[13:14]
	ds_load_2addr_stride64_b64 v[3:6], v36 offset0:17 offset1:33
	s_waitcnt lgkmcnt(1)
	v_mul_f64 v[7:8], v[7:8], -v[19:20]
	s_waitcnt lgkmcnt(0)
	s_barrier
	buffer_gl0_inv
	v_mul_f64 v[3:4], v[11:12], -v[3:4]
	v_fma_f64 v[9:10], -v[11:12], v[15:16], v[9:10]
	v_fma_f64 v[5:6], -v[11:12], v[5:6], v[13:14]
	v_max_u32_e32 v11, 0x80, v0
	ds_store_2addr_stride64_b64 v2, v[7:8], v[9:10] offset1:8
	ds_store_2addr_stride64_b64 v2, v[3:4], v[5:6] offset0:16 offset1:32
	v_lshlrev_b32_e32 v35, 3, v11
	s_waitcnt lgkmcnt(0)
	s_barrier
	buffer_gl0_inv
	ds_load_2addr_stride64_b64 v[3:6], v2 offset1:8
	ds_load_2addr_stride64_b64 v[7:10], v35 offset0:6 offset1:14
	v_min_u32_e32 v11, 0x17f, v0
	s_delay_alu instid0(VALU_DEP_1)
	v_lshlrev_b32_e32 v36, 3, v11
	ds_load_2addr_stride64_b64 v[11:14], v2 offset0:16 offset1:32
	ds_load_2addr_stride64_b64 v[15:18], v36 offset0:2 offset1:10
	s_waitcnt lgkmcnt(2)
	v_div_scale_f64 v[19:20], null, v[7:8], v[7:8], v[3:4]
	v_div_scale_f64 v[31:32], vcc_lo, v[3:4], v[7:8], v[3:4]
	s_waitcnt lgkmcnt(0)
	v_div_scale_f64 v[21:22], null, v[17:18], v[17:18], v[11:12]
	s_delay_alu instid0(VALU_DEP_3) | instskip(NEXT) | instid1(VALU_DEP_1)
	v_rcp_f64_e32 v[23:24], v[19:20]
	v_rcp_f64_e32 v[25:26], v[21:22]
	s_waitcnt_depctr 0xfff
	v_fma_f64 v[27:28], -v[19:20], v[23:24], 1.0
	v_fma_f64 v[29:30], -v[21:22], v[25:26], 1.0
	s_delay_alu instid0(VALU_DEP_2) | instskip(NEXT) | instid1(VALU_DEP_2)
	v_fma_f64 v[23:24], v[23:24], v[27:28], v[23:24]
	v_fma_f64 v[25:26], v[25:26], v[29:30], v[25:26]
	s_delay_alu instid0(VALU_DEP_2) | instskip(NEXT) | instid1(VALU_DEP_2)
	v_fma_f64 v[27:28], -v[19:20], v[23:24], 1.0
	v_fma_f64 v[29:30], -v[21:22], v[25:26], 1.0
	s_delay_alu instid0(VALU_DEP_2) | instskip(SKIP_1) | instid1(VALU_DEP_3)
	v_fma_f64 v[23:24], v[23:24], v[27:28], v[23:24]
	v_div_scale_f64 v[27:28], s3, v[11:12], v[17:18], v[11:12]
	v_fma_f64 v[25:26], v[25:26], v[29:30], v[25:26]
	s_delay_alu instid0(VALU_DEP_3) | instskip(NEXT) | instid1(VALU_DEP_2)
	v_mul_f64 v[29:30], v[31:32], v[23:24]
	v_mul_f64 v[33:34], v[27:28], v[25:26]
	s_delay_alu instid0(VALU_DEP_2) | instskip(NEXT) | instid1(VALU_DEP_2)
	v_fma_f64 v[19:20], -v[19:20], v[29:30], v[31:32]
	v_fma_f64 v[21:22], -v[21:22], v[33:34], v[27:28]
	s_delay_alu instid0(VALU_DEP_2) | instskip(SKIP_2) | instid1(VALU_DEP_2)
	v_div_fmas_f64 v[19:20], v[19:20], v[23:24], v[29:30]
	s_mov_b32 vcc_lo, s3
	s_mov_b32 s3, exec_lo
	v_div_fmas_f64 v[21:22], v[21:22], v[25:26], v[33:34]
	s_delay_alu instid0(VALU_DEP_2)
	v_div_fixup_f64 v[7:8], v[19:20], v[7:8], v[3:4]
	ds_load_b64 v[3:4], v35 offset:15360
	v_add_nc_u32_e32 v19, 0xfffffc00, v35
	ds_load_b64 v[19:20], v19
	v_div_fixup_f64 v[11:12], v[21:22], v[17:18], v[11:12]
	v_fma_f64 v[9:10], -v[7:8], v[9:10], v[5:6]
	s_waitcnt lgkmcnt(1)
	v_fma_f64 v[13:14], -v[7:8], v[3:4], v[13:14]
	ds_load_2addr_stride64_b64 v[3:6], v36 offset0:18 offset1:34
	s_waitcnt lgkmcnt(1)
	v_mul_f64 v[7:8], v[7:8], -v[19:20]
	s_waitcnt lgkmcnt(0)
	s_barrier
	buffer_gl0_inv
	v_mul_f64 v[3:4], v[11:12], -v[3:4]
	v_fma_f64 v[9:10], -v[11:12], v[15:16], v[9:10]
	v_fma_f64 v[5:6], -v[11:12], v[5:6], v[13:14]
	ds_store_2addr_stride64_b64 v2, v[7:8], v[9:10] offset1:8
	ds_store_2addr_stride64_b64 v2, v[3:4], v[5:6] offset0:16 offset1:32
	s_waitcnt lgkmcnt(0)
	s_barrier
	buffer_gl0_inv
	v_cmpx_gt_u32_e32 0x100, v0
	s_cbranch_execz .LBB41_2
; %bb.1:
	v_or_b32_e32 v0, 0x2000, v2
	ds_load_b64 v[11:12], v0
	ds_load_b64 v[13:14], v2 offset:2048
	v_or_b32_e32 v0, 0x1000, v2
	ds_load_2addr_stride64_b64 v[3:6], v0 offset1:4
	v_or_b32_e32 v0, 0x4000, v2
	s_waitcnt lgkmcnt(1)
	v_mul_f64 v[7:8], v[11:12], v[13:14]
	s_waitcnt lgkmcnt(0)
	s_delay_alu instid0(VALU_DEP_1) | instskip(NEXT) | instid1(VALU_DEP_1)
	v_fma_f64 v[15:16], v[5:6], v[3:4], -v[7:8]
	v_div_scale_f64 v[7:8], null, v[15:16], v[15:16], 1.0
	v_div_scale_f64 v[19:20], vcc_lo, 1.0, v[15:16], 1.0
	s_delay_alu instid0(VALU_DEP_2) | instskip(SKIP_2) | instid1(VALU_DEP_1)
	v_rcp_f64_e32 v[9:10], v[7:8]
	s_waitcnt_depctr 0xfff
	v_fma_f64 v[17:18], -v[7:8], v[9:10], 1.0
	v_fma_f64 v[9:10], v[9:10], v[17:18], v[9:10]
	s_delay_alu instid0(VALU_DEP_1) | instskip(NEXT) | instid1(VALU_DEP_1)
	v_fma_f64 v[17:18], -v[7:8], v[9:10], 1.0
	v_fma_f64 v[17:18], v[9:10], v[17:18], v[9:10]
	s_delay_alu instid0(VALU_DEP_1) | instskip(NEXT) | instid1(VALU_DEP_1)
	v_mul_f64 v[21:22], v[19:20], v[17:18]
	v_fma_f64 v[19:20], -v[7:8], v[21:22], v[19:20]
	ds_load_2addr_stride64_b64 v[7:10], v0 offset1:4
	s_waitcnt lgkmcnt(0)
	v_mul_f64 v[11:12], v[11:12], v[9:10]
	v_mul_f64 v[13:14], v[13:14], v[7:8]
	v_div_fmas_f64 v[17:18], v[19:20], v[17:18], v[21:22]
	s_delay_alu instid0(VALU_DEP_3) | instskip(NEXT) | instid1(VALU_DEP_3)
	v_fma_f64 v[5:6], v[5:6], v[7:8], -v[11:12]
	v_fma_f64 v[3:4], v[3:4], v[9:10], -v[13:14]
	s_delay_alu instid0(VALU_DEP_3) | instskip(NEXT) | instid1(VALU_DEP_1)
	v_div_fixup_f64 v[7:8], v[17:18], v[15:16], 1.0
	v_mul_f64 v[5:6], v[7:8], v[5:6]
	s_delay_alu instid0(VALU_DEP_3)
	v_mul_f64 v[3:4], v[7:8], v[3:4]
	ds_store_2addr_stride64_b64 v2, v[5:6], v[3:4] offset0:24 offset1:28
.LBB41_2:
	s_or_b32 exec_lo, exec_lo, s3
	s_waitcnt lgkmcnt(0)
	s_barrier
	buffer_gl0_inv
	s_and_saveexec_b32 s3, s2
	s_cbranch_execz .LBB41_4
; %bb.3:
	s_clause 0x1
	s_load_b32 s2, s[0:1], 0x8
	s_load_b64 s[0:1], s[0:1], 0x30
	s_waitcnt lgkmcnt(0)
	v_mad_u64_u32 v[3:4], null, s15, s2, v[1:2]
	ds_load_b64 v[0:1], v2 offset:12288
	v_mov_b32_e32 v4, 0
	s_delay_alu instid0(VALU_DEP_1) | instskip(NEXT) | instid1(VALU_DEP_1)
	v_lshlrev_b64 v[2:3], 3, v[3:4]
	v_add_co_u32 v2, vcc_lo, s0, v2
	s_delay_alu instid0(VALU_DEP_2)
	v_add_co_ci_u32_e32 v3, vcc_lo, s1, v3, vcc_lo
	s_waitcnt lgkmcnt(0)
	global_store_b64 v[2:3], v[0:1], off
.LBB41_4:
	s_nop 0
	s_sendmsg sendmsg(MSG_DEALLOC_VGPRS)
	s_endpgm
	.section	.rodata,"a",@progbits
	.p2align	6, 0x0
	.amdhsa_kernel _ZN9rocsparseL44gtsv_nopivot_strided_batch_pcr_stage2_kernelILj512EdEEviiiPKT0_S3_S3_S3_PS1_
		.amdhsa_group_segment_fixed_size 20480
		.amdhsa_private_segment_fixed_size 0
		.amdhsa_kernarg_size 312
		.amdhsa_user_sgpr_count 14
		.amdhsa_user_sgpr_dispatch_ptr 0
		.amdhsa_user_sgpr_queue_ptr 0
		.amdhsa_user_sgpr_kernarg_segment_ptr 1
		.amdhsa_user_sgpr_dispatch_id 0
		.amdhsa_user_sgpr_private_segment_size 0
		.amdhsa_wavefront_size32 1
		.amdhsa_uses_dynamic_stack 0
		.amdhsa_enable_private_segment 0
		.amdhsa_system_sgpr_workgroup_id_x 1
		.amdhsa_system_sgpr_workgroup_id_y 1
		.amdhsa_system_sgpr_workgroup_id_z 0
		.amdhsa_system_sgpr_workgroup_info 0
		.amdhsa_system_vgpr_workitem_id 0
		.amdhsa_next_free_vgpr 37
		.amdhsa_next_free_sgpr 16
		.amdhsa_reserve_vcc 1
		.amdhsa_float_round_mode_32 0
		.amdhsa_float_round_mode_16_64 0
		.amdhsa_float_denorm_mode_32 3
		.amdhsa_float_denorm_mode_16_64 3
		.amdhsa_dx10_clamp 1
		.amdhsa_ieee_mode 1
		.amdhsa_fp16_overflow 0
		.amdhsa_workgroup_processor_mode 1
		.amdhsa_memory_ordered 1
		.amdhsa_forward_progress 0
		.amdhsa_shared_vgpr_count 0
		.amdhsa_exception_fp_ieee_invalid_op 0
		.amdhsa_exception_fp_denorm_src 0
		.amdhsa_exception_fp_ieee_div_zero 0
		.amdhsa_exception_fp_ieee_overflow 0
		.amdhsa_exception_fp_ieee_underflow 0
		.amdhsa_exception_fp_ieee_inexact 0
		.amdhsa_exception_int_div_zero 0
	.end_amdhsa_kernel
	.section	.text._ZN9rocsparseL44gtsv_nopivot_strided_batch_pcr_stage2_kernelILj512EdEEviiiPKT0_S3_S3_S3_PS1_,"axG",@progbits,_ZN9rocsparseL44gtsv_nopivot_strided_batch_pcr_stage2_kernelILj512EdEEviiiPKT0_S3_S3_S3_PS1_,comdat
.Lfunc_end41:
	.size	_ZN9rocsparseL44gtsv_nopivot_strided_batch_pcr_stage2_kernelILj512EdEEviiiPKT0_S3_S3_S3_PS1_, .Lfunc_end41-_ZN9rocsparseL44gtsv_nopivot_strided_batch_pcr_stage2_kernelILj512EdEEviiiPKT0_S3_S3_S3_PS1_
                                        ; -- End function
	.section	.AMDGPU.csdata,"",@progbits
; Kernel info:
; codeLenInByte = 3956
; NumSgprs: 18
; NumVgprs: 37
; ScratchSize: 0
; MemoryBound: 1
; FloatMode: 240
; IeeeMode: 1
; LDSByteSize: 20480 bytes/workgroup (compile time only)
; SGPRBlocks: 2
; VGPRBlocks: 4
; NumSGPRsForWavesPerEU: 18
; NumVGPRsForWavesPerEU: 37
; Occupancy: 16
; WaveLimiterHint : 1
; COMPUTE_PGM_RSRC2:SCRATCH_EN: 0
; COMPUTE_PGM_RSRC2:USER_SGPR: 14
; COMPUTE_PGM_RSRC2:TRAP_HANDLER: 0
; COMPUTE_PGM_RSRC2:TGID_X_EN: 1
; COMPUTE_PGM_RSRC2:TGID_Y_EN: 1
; COMPUTE_PGM_RSRC2:TGID_Z_EN: 0
; COMPUTE_PGM_RSRC2:TIDIG_COMP_CNT: 0
	.section	.text._ZN9rocsparseL49gtsv_nopivot_strided_batch_pcr_pow2_shared_kernelILj2E21rocsparse_complex_numIfEEEviiiPKT0_S5_S5_PS3_,"axG",@progbits,_ZN9rocsparseL49gtsv_nopivot_strided_batch_pcr_pow2_shared_kernelILj2E21rocsparse_complex_numIfEEEviiiPKT0_S5_S5_PS3_,comdat
	.globl	_ZN9rocsparseL49gtsv_nopivot_strided_batch_pcr_pow2_shared_kernelILj2E21rocsparse_complex_numIfEEEviiiPKT0_S5_S5_PS3_ ; -- Begin function _ZN9rocsparseL49gtsv_nopivot_strided_batch_pcr_pow2_shared_kernelILj2E21rocsparse_complex_numIfEEEviiiPKT0_S5_S5_PS3_
	.p2align	8
	.type	_ZN9rocsparseL49gtsv_nopivot_strided_batch_pcr_pow2_shared_kernelILj2E21rocsparse_complex_numIfEEEviiiPKT0_S5_S5_PS3_,@function
_ZN9rocsparseL49gtsv_nopivot_strided_batch_pcr_pow2_shared_kernelILj2E21rocsparse_complex_numIfEEEviiiPKT0_S5_S5_PS3_: ; @_ZN9rocsparseL49gtsv_nopivot_strided_batch_pcr_pow2_shared_kernelILj2E21rocsparse_complex_numIfEEEviiiPKT0_S5_S5_PS3_
; %bb.0:
	s_clause 0x1
	s_load_b32 s8, s[0:1], 0x8
	s_load_b256 s[0:7], s[0:1], 0x10
	s_waitcnt lgkmcnt(0)
	v_mad_u64_u32 v[1:2], null, s15, s8, v[0:1]
	s_delay_alu instid0(VALU_DEP_1) | instskip(NEXT) | instid1(VALU_DEP_1)
	v_ashrrev_i32_e32 v2, 31, v1
	v_lshlrev_b64 v[1:2], 3, v[1:2]
	s_delay_alu instid0(VALU_DEP_1) | instskip(NEXT) | instid1(VALU_DEP_2)
	v_add_co_u32 v3, vcc_lo, s0, v1
	v_add_co_ci_u32_e32 v4, vcc_lo, s1, v2, vcc_lo
	v_add_co_u32 v5, vcc_lo, s2, v1
	v_add_co_ci_u32_e32 v6, vcc_lo, s3, v2, vcc_lo
	;; [unrolled: 2-line block ×4, first 2 shown]
	global_load_b64 v[9:10], v[3:4], off
	global_load_b64 v[4:5], v[5:6], off
	;; [unrolled: 1-line block ×4, first 2 shown]
	v_lshlrev_b32_e32 v3, 3, v0
	s_mov_b32 s0, exec_lo
	s_waitcnt vmcnt(2)
	ds_store_2addr_b64 v3, v[9:10], v[4:5] offset1:4
	s_waitcnt vmcnt(0)
	ds_store_2addr_b64 v3, v[6:7], v[11:12] offset0:8 offset1:16
	s_waitcnt vmcnt(0) lgkmcnt(0)
	s_waitcnt_vscnt null, 0x0
	; wave barrier
	s_waitcnt lgkmcnt(0)
	buffer_gl0_inv
	v_cmpx_eq_u32_e32 0, v0
	s_cbranch_execz .LBB42_2
; %bb.1:
	v_mov_b32_e32 v0, 0
	v_or_b32_e32 v8, 32, v3
	v_or_b32_e32 v10, 64, v3
	;; [unrolled: 1-line block ×3, first 2 shown]
	ds_load_2addr_b64 v[4:7], v0 offset0:1 offset1:5
	ds_load_b64 v[8:9], v8
	ds_load_b64 v[10:11], v10
	s_waitcnt lgkmcnt(1)
	v_mul_f32_e64 v18, v9, -v7
	s_waitcnt lgkmcnt(0)
	v_mul_f32_e32 v17, v5, v10
	ds_load_b64 v[12:13], v12
	ds_load_b64 v[14:15], v0 offset:136
	v_mul_f32_e32 v16, v9, v6
	v_mul_f32_e64 v19, v5, -v11
	v_fmac_f32_e32 v18, v6, v8
	v_fmac_f32_e32 v17, v11, v4
	s_delay_alu instid0(VALU_DEP_3)
	v_fmac_f32_e32 v19, v10, v4
	s_waitcnt lgkmcnt(1)
	v_dual_mul_f32 v25, v13, v6 :: v_dual_fmac_f32 v16, v7, v8
	v_mul_f32_e64 v23, v13, -v7
	s_waitcnt lgkmcnt(0)
	v_mul_f32_e64 v26, v15, -v11
	v_mul_f32_e64 v28, v9, -v15
	v_dual_fmac_f32 v25, v7, v12 :: v_dual_sub_f32 v16, v16, v17
	v_sub_f32_e32 v17, v18, v19
	s_delay_alu instid0(VALU_DEP_3) | instskip(NEXT) | instid1(VALU_DEP_3)
	v_dual_mul_f32 v9, v9, v14 :: v_dual_fmac_f32 v28, v14, v8
	v_dual_mul_f32 v27, v15, v10 :: v_dual_mul_f32 v18, v16, v16
	s_delay_alu instid0(VALU_DEP_3) | instskip(NEXT) | instid1(VALU_DEP_3)
	v_fma_f32 v7, v17, 0, -v16
	v_dual_fmac_f32 v9, v15, v8 :: v_dual_fmac_f32 v26, v10, v14
	s_delay_alu instid0(VALU_DEP_3) | instskip(NEXT) | instid1(VALU_DEP_1)
	v_dual_fmac_f32 v27, v11, v14 :: v_dual_fmac_f32 v18, v17, v17
	v_dual_fmac_f32 v23, v6, v12 :: v_dual_sub_f32 v8, v25, v27
	s_delay_alu instid0(VALU_DEP_2) | instskip(SKIP_1) | instid1(VALU_DEP_3)
	v_div_scale_f32 v19, null, v18, v18, 1.0
	v_div_scale_f32 v22, vcc_lo, 1.0, v18, 1.0
	v_sub_f32_e32 v10, v23, v26
	s_delay_alu instid0(VALU_DEP_3) | instskip(SKIP_2) | instid1(VALU_DEP_1)
	v_rcp_f32_e32 v20, v19
	s_waitcnt_depctr 0xfff
	v_fma_f32 v21, -v19, v20, 1.0
	v_fmac_f32_e32 v20, v21, v20
	s_delay_alu instid0(VALU_DEP_1) | instskip(NEXT) | instid1(VALU_DEP_1)
	v_mul_f32_e32 v21, v22, v20
	v_fma_f32 v24, -v19, v21, v22
	s_delay_alu instid0(VALU_DEP_1) | instskip(SKIP_2) | instid1(VALU_DEP_3)
	v_fmac_f32_e32 v21, v24, v20
	v_mul_f32_e64 v24, v5, -v13
	v_mul_f32_e32 v5, v5, v12
	v_fma_f32 v6, -v19, v21, v22
	s_delay_alu instid0(VALU_DEP_2) | instskip(NEXT) | instid1(VALU_DEP_2)
	v_fmac_f32_e32 v5, v13, v4
	v_div_fmas_f32 v6, v6, v20, v21
	s_delay_alu instid0(VALU_DEP_1) | instskip(SKIP_2) | instid1(VALU_DEP_3)
	v_div_fixup_f32 v6, v6, v18, 1.0
	v_fmac_f32_e32 v24, v12, v4
	v_fma_f32 v4, 0, v16, v17
	v_mul_f32_e32 v7, v7, v6
	s_delay_alu instid0(VALU_DEP_3) | instskip(NEXT) | instid1(VALU_DEP_3)
	v_sub_f32_e32 v11, v28, v24
	v_mul_f32_e32 v12, v4, v6
	s_delay_alu instid0(VALU_DEP_3) | instskip(NEXT) | instid1(VALU_DEP_1)
	v_mul_f32_e64 v4, v7, -v8
	v_dual_sub_f32 v9, v9, v5 :: v_dual_fmac_f32 v4, v10, v12
	s_delay_alu instid0(VALU_DEP_1) | instskip(SKIP_2) | instid1(VALU_DEP_3)
	v_mul_f32_e64 v6, v7, -v9
	v_mul_f32_e32 v5, v10, v7
	v_mul_f32_e32 v7, v7, v11
	v_fmac_f32_e32 v6, v11, v12
	s_delay_alu instid0(VALU_DEP_3) | instskip(NEXT) | instid1(VALU_DEP_3)
	v_fmac_f32_e32 v5, v8, v12
	v_fmac_f32_e32 v7, v9, v12
	ds_store_b128 v0, v[4:7] offset:96
.LBB42_2:
	s_or_b32 exec_lo, exec_lo, s0
	s_waitcnt vmcnt(0) lgkmcnt(0)
	s_waitcnt_vscnt null, 0x0
	; wave barrier
	s_waitcnt lgkmcnt(0)
	buffer_gl0_inv
	ds_load_b64 v[3:4], v3 offset:96
	s_waitcnt lgkmcnt(0)
	global_store_b64 v[1:2], v[3:4], off
	s_nop 0
	s_sendmsg sendmsg(MSG_DEALLOC_VGPRS)
	s_endpgm
	.section	.rodata,"a",@progbits
	.p2align	6, 0x0
	.amdhsa_kernel _ZN9rocsparseL49gtsv_nopivot_strided_batch_pcr_pow2_shared_kernelILj2E21rocsparse_complex_numIfEEEviiiPKT0_S5_S5_PS3_
		.amdhsa_group_segment_fixed_size 152
		.amdhsa_private_segment_fixed_size 0
		.amdhsa_kernarg_size 48
		.amdhsa_user_sgpr_count 15
		.amdhsa_user_sgpr_dispatch_ptr 0
		.amdhsa_user_sgpr_queue_ptr 0
		.amdhsa_user_sgpr_kernarg_segment_ptr 1
		.amdhsa_user_sgpr_dispatch_id 0
		.amdhsa_user_sgpr_private_segment_size 0
		.amdhsa_wavefront_size32 1
		.amdhsa_uses_dynamic_stack 0
		.amdhsa_enable_private_segment 0
		.amdhsa_system_sgpr_workgroup_id_x 1
		.amdhsa_system_sgpr_workgroup_id_y 0
		.amdhsa_system_sgpr_workgroup_id_z 0
		.amdhsa_system_sgpr_workgroup_info 0
		.amdhsa_system_vgpr_workitem_id 0
		.amdhsa_next_free_vgpr 29
		.amdhsa_next_free_sgpr 16
		.amdhsa_reserve_vcc 1
		.amdhsa_float_round_mode_32 0
		.amdhsa_float_round_mode_16_64 0
		.amdhsa_float_denorm_mode_32 3
		.amdhsa_float_denorm_mode_16_64 3
		.amdhsa_dx10_clamp 1
		.amdhsa_ieee_mode 1
		.amdhsa_fp16_overflow 0
		.amdhsa_workgroup_processor_mode 1
		.amdhsa_memory_ordered 1
		.amdhsa_forward_progress 0
		.amdhsa_shared_vgpr_count 0
		.amdhsa_exception_fp_ieee_invalid_op 0
		.amdhsa_exception_fp_denorm_src 0
		.amdhsa_exception_fp_ieee_div_zero 0
		.amdhsa_exception_fp_ieee_overflow 0
		.amdhsa_exception_fp_ieee_underflow 0
		.amdhsa_exception_fp_ieee_inexact 0
		.amdhsa_exception_int_div_zero 0
	.end_amdhsa_kernel
	.section	.text._ZN9rocsparseL49gtsv_nopivot_strided_batch_pcr_pow2_shared_kernelILj2E21rocsparse_complex_numIfEEEviiiPKT0_S5_S5_PS3_,"axG",@progbits,_ZN9rocsparseL49gtsv_nopivot_strided_batch_pcr_pow2_shared_kernelILj2E21rocsparse_complex_numIfEEEviiiPKT0_S5_S5_PS3_,comdat
.Lfunc_end42:
	.size	_ZN9rocsparseL49gtsv_nopivot_strided_batch_pcr_pow2_shared_kernelILj2E21rocsparse_complex_numIfEEEviiiPKT0_S5_S5_PS3_, .Lfunc_end42-_ZN9rocsparseL49gtsv_nopivot_strided_batch_pcr_pow2_shared_kernelILj2E21rocsparse_complex_numIfEEEviiiPKT0_S5_S5_PS3_
                                        ; -- End function
	.section	.AMDGPU.csdata,"",@progbits
; Kernel info:
; codeLenInByte = 680
; NumSgprs: 18
; NumVgprs: 29
; ScratchSize: 0
; MemoryBound: 0
; FloatMode: 240
; IeeeMode: 1
; LDSByteSize: 152 bytes/workgroup (compile time only)
; SGPRBlocks: 2
; VGPRBlocks: 3
; NumSGPRsForWavesPerEU: 18
; NumVGPRsForWavesPerEU: 29
; Occupancy: 16
; WaveLimiterHint : 0
; COMPUTE_PGM_RSRC2:SCRATCH_EN: 0
; COMPUTE_PGM_RSRC2:USER_SGPR: 15
; COMPUTE_PGM_RSRC2:TRAP_HANDLER: 0
; COMPUTE_PGM_RSRC2:TGID_X_EN: 1
; COMPUTE_PGM_RSRC2:TGID_Y_EN: 0
; COMPUTE_PGM_RSRC2:TGID_Z_EN: 0
; COMPUTE_PGM_RSRC2:TIDIG_COMP_CNT: 0
	.section	.text._ZN9rocsparseL49gtsv_nopivot_strided_batch_pcr_pow2_shared_kernelILj4E21rocsparse_complex_numIfEEEviiiPKT0_S5_S5_PS3_,"axG",@progbits,_ZN9rocsparseL49gtsv_nopivot_strided_batch_pcr_pow2_shared_kernelILj4E21rocsparse_complex_numIfEEEviiiPKT0_S5_S5_PS3_,comdat
	.globl	_ZN9rocsparseL49gtsv_nopivot_strided_batch_pcr_pow2_shared_kernelILj4E21rocsparse_complex_numIfEEEviiiPKT0_S5_S5_PS3_ ; -- Begin function _ZN9rocsparseL49gtsv_nopivot_strided_batch_pcr_pow2_shared_kernelILj4E21rocsparse_complex_numIfEEEviiiPKT0_S5_S5_PS3_
	.p2align	8
	.type	_ZN9rocsparseL49gtsv_nopivot_strided_batch_pcr_pow2_shared_kernelILj4E21rocsparse_complex_numIfEEEviiiPKT0_S5_S5_PS3_,@function
_ZN9rocsparseL49gtsv_nopivot_strided_batch_pcr_pow2_shared_kernelILj4E21rocsparse_complex_numIfEEEviiiPKT0_S5_S5_PS3_: ; @_ZN9rocsparseL49gtsv_nopivot_strided_batch_pcr_pow2_shared_kernelILj4E21rocsparse_complex_numIfEEEviiiPKT0_S5_S5_PS3_
; %bb.0:
	s_clause 0x1
	s_load_b32 s8, s[0:1], 0x8
	s_load_b256 s[0:7], s[0:1], 0x10
	v_min_u32_e32 v13, 2, v0
	s_delay_alu instid0(VALU_DEP_1) | instskip(SKIP_2) | instid1(VALU_DEP_1)
	v_lshlrev_b32_e32 v20, 3, v13
	s_waitcnt lgkmcnt(0)
	v_mad_u64_u32 v[1:2], null, s15, s8, v[0:1]
	v_ashrrev_i32_e32 v2, 31, v1
	s_delay_alu instid0(VALU_DEP_1) | instskip(NEXT) | instid1(VALU_DEP_1)
	v_lshlrev_b64 v[1:2], 3, v[1:2]
	v_add_co_u32 v3, vcc_lo, s0, v1
	s_delay_alu instid0(VALU_DEP_2)
	v_add_co_ci_u32_e32 v4, vcc_lo, s1, v2, vcc_lo
	v_add_co_u32 v5, vcc_lo, s2, v1
	v_add_co_ci_u32_e32 v6, vcc_lo, s3, v2, vcc_lo
	v_add_co_u32 v7, vcc_lo, s4, v1
	;; [unrolled: 2-line block ×3, first 2 shown]
	v_add_co_ci_u32_e32 v2, vcc_lo, s7, v2, vcc_lo
	global_load_b64 v[9:10], v[3:4], off
	global_load_b64 v[4:5], v[5:6], off
	;; [unrolled: 1-line block ×4, first 2 shown]
	v_max_u32_e32 v8, 1, v0
	v_lshlrev_b32_e32 v3, 3, v0
	s_waitcnt vmcnt(2)
	ds_store_2addr_b64 v3, v[9:10], v[4:5] offset1:6
	s_waitcnt vmcnt(0)
	ds_store_2addr_b64 v3, v[6:7], v[11:12] offset0:12 offset1:24
	v_lshlrev_b32_e32 v24, 3, v8
	s_waitcnt vmcnt(0) lgkmcnt(0)
	s_waitcnt_vscnt null, 0x0
	; wave barrier
	s_waitcnt lgkmcnt(0)
	buffer_gl0_inv
	ds_load_2addr_b64 v[4:7], v24 offset0:5 offset1:11
	ds_load_2addr_b64 v[8:11], v20 offset0:1 offset1:7
	s_waitcnt lgkmcnt(0)
	v_dual_mul_f32 v28, v5, v5 :: v_dual_mul_f32 v29, v11, v11
	ds_load_2addr_b64 v[16:19], v3 offset0:12 offset1:24
	ds_load_2addr_b64 v[12:15], v3 offset1:6
	v_dual_fmac_f32 v29, v10, v10 :: v_dual_add_nc_u32 v26, -8, v24
	s_delay_alu instid0(VALU_DEP_1) | instskip(SKIP_1) | instid1(VALU_DEP_2)
	v_div_scale_f32 v31, null, v29, v29, 1.0
	v_div_scale_f32 v35, s0, 1.0, v29, 1.0
	v_rcp_f32_e32 v33, v31
	s_waitcnt_depctr 0xfff
	v_fma_f32 v22, -v31, v33, 1.0
	s_delay_alu instid0(VALU_DEP_1) | instskip(NEXT) | instid1(VALU_DEP_1)
	v_dual_fmac_f32 v28, v4, v4 :: v_dual_fmac_f32 v33, v22, v33
	v_div_scale_f32 v30, null, v28, v28, 1.0
	v_div_scale_f32 v34, vcc_lo, 1.0, v28, 1.0
	s_delay_alu instid0(VALU_DEP_3) | instskip(NEXT) | instid1(VALU_DEP_3)
	v_mul_f32_e32 v37, v35, v33
	v_rcp_f32_e32 v32, v30
	s_delay_alu instid0(VALU_DEP_1) | instskip(NEXT) | instid1(VALU_DEP_1)
	v_fma_f32 v39, -v31, v37, v35
	v_fmac_f32_e32 v37, v39, v33
	s_waitcnt_depctr 0xfff
	v_fma_f32 v21, -v30, v32, 1.0
	s_waitcnt lgkmcnt(1)
	v_mul_f32_e32 v39, v11, v17
	v_mul_f32_e64 v11, v11, -v16
	v_fma_f32 v31, -v31, v37, v35
	s_delay_alu instid0(VALU_DEP_3)
	v_dual_fmac_f32 v32, v21, v32 :: v_dual_fmac_f32 v39, v16, v10
	ds_load_2addr_b64 v[20:23], v20 offset0:13 offset1:25
	ds_load_b64 v[24:25], v24 offset:184
	ds_load_b64 v[26:27], v26
	s_waitcnt lgkmcnt(0)
	v_mul_f32_e32 v36, v34, v32
	; wave barrier
	buffer_gl0_inv
	v_fmac_f32_e32 v11, v17, v10
	v_fma_f32 v38, -v30, v36, v34
	s_delay_alu instid0(VALU_DEP_1) | instskip(SKIP_2) | instid1(VALU_DEP_3)
	v_fmac_f32_e32 v36, v38, v32
	v_mul_f32_e32 v38, v5, v13
	v_mul_f32_e64 v5, v5, -v12
	v_fma_f32 v30, -v30, v36, v34
	s_delay_alu instid0(VALU_DEP_3) | instskip(NEXT) | instid1(VALU_DEP_3)
	v_fmac_f32_e32 v38, v12, v4
	v_fmac_f32_e32 v5, v13, v4
	s_delay_alu instid0(VALU_DEP_3) | instskip(SKIP_3) | instid1(VALU_DEP_2)
	v_div_fmas_f32 v30, v30, v32, v36
	s_mov_b32 vcc_lo, s0
	s_mov_b32 s0, exec_lo
	v_div_fmas_f32 v31, v31, v33, v37
	v_div_fixup_f32 v13, v30, v28, 1.0
	s_delay_alu instid0(VALU_DEP_2) | instskip(NEXT) | instid1(VALU_DEP_1)
	v_div_fixup_f32 v4, v31, v29, 1.0
	v_dual_mul_f32 v12, v4, v39 :: v_dual_mul_f32 v5, v5, v13
	v_mul_f32_e32 v4, v11, v4
	v_mul_f32_e32 v10, v13, v38
	s_delay_alu instid0(VALU_DEP_3) | instskip(NEXT) | instid1(VALU_DEP_3)
	v_mul_f32_e64 v11, v5, -v7
	v_mul_f32_e32 v33, v4, v21
	v_dual_mul_f32 v13, v5, v6 :: v_dual_mul_f32 v30, v4, v8
	v_mul_f32_e64 v16, v5, -v25
	v_dual_mul_f32 v17, v5, v24 :: v_dual_mul_f32 v32, v4, v22
	s_delay_alu instid0(VALU_DEP_3)
	v_dual_mul_f32 v28, v5, v27 :: v_dual_fmac_f32 v13, v7, v10
	v_mul_f32_e64 v29, v4, -v9
	v_fmac_f32_e32 v11, v6, v10
	v_mul_f32_e64 v5, v5, -v26
	v_mul_f32_e64 v31, v4, -v23
	v_fmac_f32_e32 v16, v24, v10
	v_dual_fmac_f32 v17, v25, v10 :: v_dual_fmac_f32 v32, v23, v12
	v_dual_fmac_f32 v29, v8, v12 :: v_dual_sub_f32 v8, v14, v11
	v_dual_fmac_f32 v30, v9, v12 :: v_dual_sub_f32 v9, v15, v13
	v_mul_f32_e64 v34, v4, -v20
	v_fma_f32 v4, -v26, v10, v28
	v_fma_f32 v5, -v27, v10, v5
	v_fmac_f32_e32 v31, v22, v12
	v_dual_sub_f32 v10, v18, v16 :: v_dual_sub_f32 v11, v19, v17
	v_dual_sub_f32 v8, v8, v29 :: v_dual_sub_f32 v9, v9, v30
	v_fma_f32 v6, -v20, v12, v33
	v_fma_f32 v7, -v21, v12, v34
	s_delay_alu instid0(VALU_DEP_4)
	v_dual_sub_f32 v10, v10, v31 :: v_dual_sub_f32 v11, v11, v32
	ds_store_2addr_b64 v3, v[4:5], v[8:9] offset1:6
	ds_store_2addr_b64 v3, v[6:7], v[10:11] offset0:12 offset1:24
	s_waitcnt vmcnt(0) lgkmcnt(0)
	s_waitcnt_vscnt null, 0x0
	; wave barrier
	s_waitcnt lgkmcnt(0)
	buffer_gl0_inv
	v_cmpx_gt_u32_e32 2, v0
	s_cbranch_execz .LBB43_2
; %bb.1:
	v_add_nc_u32_e32 v0, 48, v3
	v_or_b32_e32 v8, 0x60, v3
	ds_load_2addr_b64 v[4:7], v0 offset1:2
	ds_load_b64 v[12:13], v8
	ds_load_b64 v[14:15], v3 offset:16
	s_waitcnt lgkmcnt(2)
	v_mul_f32_e64 v9, v5, -v7
	s_waitcnt lgkmcnt(0)
	v_mul_f32_e64 v10, v15, -v13
	v_mul_f32_e32 v8, v15, v12
	s_delay_alu instid0(VALU_DEP_2) | instskip(NEXT) | instid1(VALU_DEP_2)
	v_dual_fmac_f32 v9, v6, v4 :: v_dual_fmac_f32 v10, v12, v14
	v_fmac_f32_e32 v8, v13, v14
	s_delay_alu instid0(VALU_DEP_2) | instskip(SKIP_1) | instid1(VALU_DEP_1)
	v_sub_f32_e32 v16, v9, v10
	v_mul_f32_e32 v0, v5, v6
	v_fmac_f32_e32 v0, v7, v4
	s_delay_alu instid0(VALU_DEP_1) | instskip(SKIP_1) | instid1(VALU_DEP_2)
	v_sub_f32_e32 v0, v0, v8
	v_or_b32_e32 v8, 0xc0, v3
	v_mul_f32_e32 v17, v0, v0
	ds_load_2addr_b64 v[8:11], v8 offset1:2
	s_waitcnt lgkmcnt(0)
	v_mul_f32_e64 v27, v5, -v11
	v_mul_f32_e64 v25, v11, -v13
	;; [unrolled: 1-line block ×3, first 2 shown]
	v_mul_f32_e32 v5, v5, v10
	s_delay_alu instid0(VALU_DEP_4) | instskip(SKIP_2) | instid1(VALU_DEP_4)
	v_dual_mul_f32 v24, v9, v6 :: v_dual_fmac_f32 v27, v10, v4
	v_fmac_f32_e32 v17, v16, v16
	v_fmac_f32_e32 v25, v12, v10
	;; [unrolled: 1-line block ×3, first 2 shown]
	s_delay_alu instid0(VALU_DEP_3) | instskip(SKIP_1) | instid1(VALU_DEP_2)
	v_div_scale_f32 v18, null, v17, v17, 1.0
	v_div_scale_f32 v21, vcc_lo, 1.0, v17, 1.0
	v_rcp_f32_e32 v19, v18
	s_waitcnt_depctr 0xfff
	v_fma_f32 v20, -v18, v19, 1.0
	s_delay_alu instid0(VALU_DEP_1) | instskip(NEXT) | instid1(VALU_DEP_1)
	v_fmac_f32_e32 v19, v20, v19
	v_mul_f32_e32 v20, v21, v19
	s_delay_alu instid0(VALU_DEP_1) | instskip(NEXT) | instid1(VALU_DEP_1)
	v_fma_f32 v23, -v18, v20, v21
	v_fmac_f32_e32 v20, v23, v19
	v_mul_f32_e64 v23, v15, -v9
	v_mul_f32_e32 v26, v11, v12
	v_mul_f32_e32 v15, v15, v8
	s_delay_alu instid0(VALU_DEP_3) | instskip(SKIP_1) | instid1(VALU_DEP_3)
	v_dual_fmac_f32 v23, v8, v14 :: v_dual_fmac_f32 v22, v6, v8
	v_fma_f32 v6, -v18, v20, v21
	v_fmac_f32_e32 v15, v9, v14
	v_fma_f32 v4, v16, 0, -v0
	s_delay_alu instid0(VALU_DEP_4) | instskip(SKIP_3) | instid1(VALU_DEP_2)
	v_sub_f32_e32 v11, v27, v23
	v_dual_fmac_f32 v24, v7, v8 :: v_dual_sub_f32 v9, v22, v25
	v_div_fmas_f32 v6, v6, v19, v20
	v_fma_f32 v0, 0, v0, v16
	v_div_fixup_f32 v6, v6, v17, 1.0
	s_delay_alu instid0(VALU_DEP_1) | instskip(SKIP_1) | instid1(VALU_DEP_4)
	v_mul_f32_e32 v7, v4, v6
	v_fmac_f32_e32 v26, v13, v10
	v_mul_f32_e32 v0, v0, v6
	s_delay_alu instid0(VALU_DEP_2) | instskip(SKIP_2) | instid1(VALU_DEP_3)
	v_sub_f32_e32 v8, v24, v26
	v_sub_f32_e32 v10, v5, v15
	v_mul_f32_e32 v5, v9, v7
	v_mul_f32_e64 v4, v7, -v8
	s_delay_alu instid0(VALU_DEP_2) | instskip(NEXT) | instid1(VALU_DEP_4)
	v_fmac_f32_e32 v5, v8, v0
	v_mul_f32_e64 v6, v7, -v10
	s_delay_alu instid0(VALU_DEP_3) | instskip(NEXT) | instid1(VALU_DEP_2)
	v_dual_mul_f32 v7, v7, v11 :: v_dual_fmac_f32 v4, v9, v0
	v_fmac_f32_e32 v6, v11, v0
	s_delay_alu instid0(VALU_DEP_2)
	v_fmac_f32_e32 v7, v10, v0
	ds_store_2addr_b64 v3, v[4:5], v[6:7] offset0:18 offset1:20
.LBB43_2:
	s_or_b32 exec_lo, exec_lo, s0
	s_waitcnt vmcnt(0) lgkmcnt(0)
	s_waitcnt_vscnt null, 0x0
	; wave barrier
	s_waitcnt lgkmcnt(0)
	buffer_gl0_inv
	ds_load_b64 v[3:4], v3 offset:144
	s_waitcnt lgkmcnt(0)
	global_store_b64 v[1:2], v[3:4], off
	s_nop 0
	s_sendmsg sendmsg(MSG_DEALLOC_VGPRS)
	s_endpgm
	.section	.rodata,"a",@progbits
	.p2align	6, 0x0
	.amdhsa_kernel _ZN9rocsparseL49gtsv_nopivot_strided_batch_pcr_pow2_shared_kernelILj4E21rocsparse_complex_numIfEEEviiiPKT0_S5_S5_PS3_
		.amdhsa_group_segment_fixed_size 232
		.amdhsa_private_segment_fixed_size 0
		.amdhsa_kernarg_size 48
		.amdhsa_user_sgpr_count 15
		.amdhsa_user_sgpr_dispatch_ptr 0
		.amdhsa_user_sgpr_queue_ptr 0
		.amdhsa_user_sgpr_kernarg_segment_ptr 1
		.amdhsa_user_sgpr_dispatch_id 0
		.amdhsa_user_sgpr_private_segment_size 0
		.amdhsa_wavefront_size32 1
		.amdhsa_uses_dynamic_stack 0
		.amdhsa_enable_private_segment 0
		.amdhsa_system_sgpr_workgroup_id_x 1
		.amdhsa_system_sgpr_workgroup_id_y 0
		.amdhsa_system_sgpr_workgroup_id_z 0
		.amdhsa_system_sgpr_workgroup_info 0
		.amdhsa_system_vgpr_workitem_id 0
		.amdhsa_next_free_vgpr 40
		.amdhsa_next_free_sgpr 16
		.amdhsa_reserve_vcc 1
		.amdhsa_float_round_mode_32 0
		.amdhsa_float_round_mode_16_64 0
		.amdhsa_float_denorm_mode_32 3
		.amdhsa_float_denorm_mode_16_64 3
		.amdhsa_dx10_clamp 1
		.amdhsa_ieee_mode 1
		.amdhsa_fp16_overflow 0
		.amdhsa_workgroup_processor_mode 1
		.amdhsa_memory_ordered 1
		.amdhsa_forward_progress 0
		.amdhsa_shared_vgpr_count 0
		.amdhsa_exception_fp_ieee_invalid_op 0
		.amdhsa_exception_fp_denorm_src 0
		.amdhsa_exception_fp_ieee_div_zero 0
		.amdhsa_exception_fp_ieee_overflow 0
		.amdhsa_exception_fp_ieee_underflow 0
		.amdhsa_exception_fp_ieee_inexact 0
		.amdhsa_exception_int_div_zero 0
	.end_amdhsa_kernel
	.section	.text._ZN9rocsparseL49gtsv_nopivot_strided_batch_pcr_pow2_shared_kernelILj4E21rocsparse_complex_numIfEEEviiiPKT0_S5_S5_PS3_,"axG",@progbits,_ZN9rocsparseL49gtsv_nopivot_strided_batch_pcr_pow2_shared_kernelILj4E21rocsparse_complex_numIfEEEviiiPKT0_S5_S5_PS3_,comdat
.Lfunc_end43:
	.size	_ZN9rocsparseL49gtsv_nopivot_strided_batch_pcr_pow2_shared_kernelILj4E21rocsparse_complex_numIfEEEviiiPKT0_S5_S5_PS3_, .Lfunc_end43-_ZN9rocsparseL49gtsv_nopivot_strided_batch_pcr_pow2_shared_kernelILj4E21rocsparse_complex_numIfEEEviiiPKT0_S5_S5_PS3_
                                        ; -- End function
	.section	.AMDGPU.csdata,"",@progbits
; Kernel info:
; codeLenInByte = 1248
; NumSgprs: 18
; NumVgprs: 40
; ScratchSize: 0
; MemoryBound: 0
; FloatMode: 240
; IeeeMode: 1
; LDSByteSize: 232 bytes/workgroup (compile time only)
; SGPRBlocks: 2
; VGPRBlocks: 4
; NumSGPRsForWavesPerEU: 18
; NumVGPRsForWavesPerEU: 40
; Occupancy: 16
; WaveLimiterHint : 0
; COMPUTE_PGM_RSRC2:SCRATCH_EN: 0
; COMPUTE_PGM_RSRC2:USER_SGPR: 15
; COMPUTE_PGM_RSRC2:TRAP_HANDLER: 0
; COMPUTE_PGM_RSRC2:TGID_X_EN: 1
; COMPUTE_PGM_RSRC2:TGID_Y_EN: 0
; COMPUTE_PGM_RSRC2:TGID_Z_EN: 0
; COMPUTE_PGM_RSRC2:TIDIG_COMP_CNT: 0
	.section	.text._ZN9rocsparseL49gtsv_nopivot_strided_batch_pcr_pow2_shared_kernelILj8E21rocsparse_complex_numIfEEEviiiPKT0_S5_S5_PS3_,"axG",@progbits,_ZN9rocsparseL49gtsv_nopivot_strided_batch_pcr_pow2_shared_kernelILj8E21rocsparse_complex_numIfEEEviiiPKT0_S5_S5_PS3_,comdat
	.globl	_ZN9rocsparseL49gtsv_nopivot_strided_batch_pcr_pow2_shared_kernelILj8E21rocsparse_complex_numIfEEEviiiPKT0_S5_S5_PS3_ ; -- Begin function _ZN9rocsparseL49gtsv_nopivot_strided_batch_pcr_pow2_shared_kernelILj8E21rocsparse_complex_numIfEEEviiiPKT0_S5_S5_PS3_
	.p2align	8
	.type	_ZN9rocsparseL49gtsv_nopivot_strided_batch_pcr_pow2_shared_kernelILj8E21rocsparse_complex_numIfEEEviiiPKT0_S5_S5_PS3_,@function
_ZN9rocsparseL49gtsv_nopivot_strided_batch_pcr_pow2_shared_kernelILj8E21rocsparse_complex_numIfEEEviiiPKT0_S5_S5_PS3_: ; @_ZN9rocsparseL49gtsv_nopivot_strided_batch_pcr_pow2_shared_kernelILj8E21rocsparse_complex_numIfEEEviiiPKT0_S5_S5_PS3_
; %bb.0:
	s_clause 0x1
	s_load_b32 s8, s[0:1], 0x8
	s_load_b256 s[0:7], s[0:1], 0x10
	v_min_u32_e32 v13, 6, v0
	v_max_u32_e32 v39, 2, v0
	v_min_u32_e32 v37, 5, v0
	s_delay_alu instid0(VALU_DEP_3) | instskip(SKIP_2) | instid1(VALU_DEP_1)
	v_lshlrev_b32_e32 v20, 3, v13
	s_waitcnt lgkmcnt(0)
	v_mad_u64_u32 v[1:2], null, s15, s8, v[0:1]
	v_ashrrev_i32_e32 v2, 31, v1
	s_delay_alu instid0(VALU_DEP_1) | instskip(NEXT) | instid1(VALU_DEP_1)
	v_lshlrev_b64 v[1:2], 3, v[1:2]
	v_add_co_u32 v3, vcc_lo, s0, v1
	s_delay_alu instid0(VALU_DEP_2)
	v_add_co_ci_u32_e32 v4, vcc_lo, s1, v2, vcc_lo
	v_add_co_u32 v5, vcc_lo, s2, v1
	v_add_co_ci_u32_e32 v6, vcc_lo, s3, v2, vcc_lo
	v_add_co_u32 v7, vcc_lo, s4, v1
	;; [unrolled: 2-line block ×3, first 2 shown]
	v_add_co_ci_u32_e32 v2, vcc_lo, s7, v2, vcc_lo
	global_load_b64 v[9:10], v[3:4], off
	global_load_b64 v[4:5], v[5:6], off
	;; [unrolled: 1-line block ×4, first 2 shown]
	v_max_u32_e32 v8, 1, v0
	v_lshlrev_b32_e32 v3, 3, v0
	s_waitcnt vmcnt(2)
	ds_store_2addr_b64 v3, v[9:10], v[4:5] offset1:10
	s_waitcnt vmcnt(0)
	ds_store_2addr_b64 v3, v[6:7], v[11:12] offset0:20 offset1:40
	v_lshlrev_b32_e32 v24, 3, v8
	s_waitcnt vmcnt(0) lgkmcnt(0)
	s_waitcnt_vscnt null, 0x0
	; wave barrier
	s_waitcnt lgkmcnt(0)
	buffer_gl0_inv
	ds_load_2addr_b64 v[4:7], v24 offset0:9 offset1:19
	ds_load_2addr_b64 v[8:11], v20 offset0:1 offset1:11
	s_waitcnt lgkmcnt(0)
	v_dual_mul_f32 v28, v5, v5 :: v_dual_mul_f32 v29, v11, v11
	ds_load_2addr_b64 v[16:19], v3 offset0:20 offset1:40
	ds_load_2addr_b64 v[12:15], v3 offset1:10
	v_fmac_f32_e32 v29, v10, v10
	s_delay_alu instid0(VALU_DEP_1) | instskip(SKIP_1) | instid1(VALU_DEP_2)
	v_div_scale_f32 v31, null, v29, v29, 1.0
	v_div_scale_f32 v35, s0, 1.0, v29, 1.0
	v_rcp_f32_e32 v33, v31
	s_waitcnt_depctr 0xfff
	v_fma_f32 v22, -v31, v33, 1.0
	s_delay_alu instid0(VALU_DEP_1) | instskip(NEXT) | instid1(VALU_DEP_1)
	v_dual_fmac_f32 v28, v4, v4 :: v_dual_fmac_f32 v33, v22, v33
	v_div_scale_f32 v30, null, v28, v28, 1.0
	v_div_scale_f32 v34, vcc_lo, 1.0, v28, 1.0
	s_delay_alu instid0(VALU_DEP_3) | instskip(NEXT) | instid1(VALU_DEP_3)
	v_mul_f32_e32 v38, v35, v33
	v_rcp_f32_e32 v32, v30
	s_delay_alu instid0(VALU_DEP_1) | instskip(SKIP_2) | instid1(VALU_DEP_1)
	v_fma_f32 v41, -v31, v38, v35
	s_waitcnt_depctr 0xfff
	v_fma_f32 v21, -v30, v32, 1.0
	v_fmac_f32_e32 v32, v21, v32
	ds_load_2addr_b64 v[20:23], v20 offset0:21 offset1:41
	v_fmac_f32_e32 v38, v41, v33
	s_waitcnt lgkmcnt(2)
	v_mul_f32_e32 v41, v11, v17
	v_mul_f32_e64 v11, v11, -v16
	v_mul_f32_e32 v36, v34, v32
	v_add_nc_u32_e32 v26, -8, v24
	v_fma_f32 v31, -v31, v38, v35
	v_fmac_f32_e32 v41, v16, v10
	v_fmac_f32_e32 v11, v17, v10
	v_fma_f32 v40, -v30, v36, v34
	ds_load_b64 v[24:25], v24 offset:312
	ds_load_b64 v[26:27], v26
	s_waitcnt vmcnt(0) lgkmcnt(0)
	s_waitcnt_vscnt null, 0x0
	; wave barrier
	s_waitcnt lgkmcnt(0)
	buffer_gl0_inv
	v_fmac_f32_e32 v36, v40, v32
	v_mul_f32_e32 v40, v5, v13
	v_mul_f32_e64 v5, v5, -v12
	s_delay_alu instid0(VALU_DEP_3) | instskip(NEXT) | instid1(VALU_DEP_2)
	v_fma_f32 v30, -v30, v36, v34
	v_fmac_f32_e32 v5, v13, v4
	s_delay_alu instid0(VALU_DEP_2) | instskip(SKIP_2) | instid1(VALU_DEP_2)
	v_div_fmas_f32 v30, v30, v32, v36
	s_mov_b32 vcc_lo, s0
	v_div_fmas_f32 v31, v31, v33, v38
	v_div_fixup_f32 v13, v30, v28, 1.0
	s_delay_alu instid0(VALU_DEP_1) | instskip(NEXT) | instid1(VALU_DEP_3)
	v_dual_mul_f32 v5, v5, v13 :: v_dual_fmac_f32 v40, v12, v4
	v_div_fixup_f32 v4, v31, v29, 1.0
	s_delay_alu instid0(VALU_DEP_2) | instskip(NEXT) | instid1(VALU_DEP_3)
	v_dual_mul_f32 v17, v5, v24 :: v_dual_lshlrev_b32 v28, 3, v39
	v_mul_f32_e32 v10, v13, v40
	s_delay_alu instid0(VALU_DEP_3) | instskip(SKIP_4) | instid1(VALU_DEP_4)
	v_dual_mul_f32 v12, v4, v41 :: v_dual_mul_f32 v29, v5, v27
	v_dual_mul_f32 v4, v11, v4 :: v_dual_mul_f32 v13, v5, v6
	v_mul_f32_e64 v11, v5, -v7
	v_mul_f32_e64 v16, v5, -v25
	;; [unrolled: 1-line block ×4, first 2 shown]
	v_mul_f32_e32 v31, v4, v8
	s_delay_alu instid0(VALU_DEP_2) | instskip(NEXT) | instid1(VALU_DEP_2)
	v_dual_fmac_f32 v13, v7, v10 :: v_dual_fmac_f32 v30, v8, v12
	v_fmac_f32_e32 v31, v9, v12
	s_delay_alu instid0(VALU_DEP_2)
	v_sub_f32_e32 v9, v15, v13
	v_fmac_f32_e32 v11, v6, v10
	v_mul_f32_e64 v32, v4, -v23
	v_mul_f32_e32 v33, v4, v22
	v_dual_mul_f32 v34, v4, v21 :: v_dual_fmac_f32 v17, v25, v10
	v_fmac_f32_e32 v16, v24, v10
	s_delay_alu instid0(VALU_DEP_3)
	v_dual_sub_f32 v8, v14, v11 :: v_dual_fmac_f32 v33, v23, v12
	v_mul_f32_e64 v35, v4, -v20
	v_fma_f32 v4, -v26, v10, v29
	v_fma_f32 v5, -v27, v10, v5
	v_dual_fmac_f32 v32, v22, v12 :: v_dual_sub_f32 v11, v19, v17
	v_dual_sub_f32 v10, v18, v16 :: v_dual_sub_f32 v9, v9, v31
	v_sub_f32_e32 v8, v8, v30
	v_fma_f32 v6, -v20, v12, v34
	s_delay_alu instid0(VALU_DEP_4)
	v_sub_f32_e32 v11, v11, v33
	v_fma_f32 v7, -v21, v12, v35
	v_sub_f32_e32 v10, v10, v32
	v_lshlrev_b32_e32 v20, 3, v37
	ds_store_2addr_b64 v3, v[4:5], v[8:9] offset1:10
	ds_store_2addr_b64 v3, v[6:7], v[10:11] offset0:20 offset1:40
	s_waitcnt vmcnt(0) lgkmcnt(0)
	s_waitcnt_vscnt null, 0x0
	; wave barrier
	s_waitcnt lgkmcnt(0)
	buffer_gl0_inv
	ds_load_2addr_b64 v[4:7], v28 offset0:8 offset1:18
	ds_load_2addr_b64 v[8:11], v20 offset0:2 offset1:12
	ds_load_2addr_b64 v[16:19], v3 offset0:20 offset1:40
	ds_load_2addr_b64 v[12:15], v3 offset1:10
	s_waitcnt lgkmcnt(3)
	v_mul_f32_e32 v29, v5, v5
	s_delay_alu instid0(VALU_DEP_1) | instskip(NEXT) | instid1(VALU_DEP_1)
	v_fmac_f32_e32 v29, v4, v4
	v_div_scale_f32 v31, null, v29, v29, 1.0
	v_div_scale_f32 v35, vcc_lo, 1.0, v29, 1.0
	s_delay_alu instid0(VALU_DEP_2) | instskip(SKIP_3) | instid1(VALU_DEP_1)
	v_rcp_f32_e32 v33, v31
	s_waitcnt_depctr 0xfff
	v_fma_f32 v21, -v31, v33, 1.0
	s_waitcnt lgkmcnt(2)
	v_dual_mul_f32 v30, v11, v11 :: v_dual_fmac_f32 v33, v21, v33
	s_delay_alu instid0(VALU_DEP_1) | instskip(NEXT) | instid1(VALU_DEP_1)
	v_dual_fmac_f32 v30, v10, v10 :: v_dual_mul_f32 v37, v35, v33
	v_div_scale_f32 v32, null, v30, v30, 1.0
	v_div_scale_f32 v36, s0, 1.0, v30, 1.0
	s_delay_alu instid0(VALU_DEP_3) | instskip(NEXT) | instid1(VALU_DEP_3)
	v_fma_f32 v39, -v31, v37, v35
	v_rcp_f32_e32 v34, v32
	s_delay_alu instid0(VALU_DEP_1) | instskip(SKIP_3) | instid1(VALU_DEP_3)
	v_fmac_f32_e32 v37, v39, v33
	s_waitcnt lgkmcnt(1)
	v_dual_mul_f32 v39, v11, v17 :: v_dual_add_nc_u32 v26, -16, v28
	v_mul_f32_e64 v11, v11, -v16
	v_fma_f32 v31, -v31, v37, v35
	s_delay_alu instid0(VALU_DEP_3)
	v_fmac_f32_e32 v39, v16, v10
	s_waitcnt_depctr 0xfff
	v_fma_f32 v22, -v32, v34, 1.0
	v_fmac_f32_e32 v11, v17, v10
	v_div_fmas_f32 v31, v31, v33, v37
	s_mov_b32 vcc_lo, s0
	s_delay_alu instid0(VALU_DEP_3)
	v_fmac_f32_e32 v34, v22, v34
	ds_load_2addr_b64 v[20:23], v20 offset0:22 offset1:42
	ds_load_b64 v[24:25], v28 offset:304
	ds_load_b64 v[26:27], v26
	s_waitcnt lgkmcnt(3)
	v_mul_f32_e32 v28, v5, v13
	v_mul_f32_e64 v5, v5, -v12
	v_mul_f32_e32 v38, v36, v34
	s_mov_b32 s0, exec_lo
	s_waitcnt lgkmcnt(0)
	v_fmac_f32_e32 v28, v12, v4
	v_fmac_f32_e32 v5, v13, v4
	v_fma_f32 v40, -v32, v38, v36
	v_div_fixup_f32 v13, v31, v29, 1.0
	; wave barrier
	buffer_gl0_inv
	v_fmac_f32_e32 v38, v40, v34
	s_delay_alu instid0(VALU_DEP_1) | instskip(NEXT) | instid1(VALU_DEP_1)
	v_fma_f32 v32, -v32, v38, v36
	v_div_fmas_f32 v32, v32, v34, v38
	s_delay_alu instid0(VALU_DEP_1) | instskip(NEXT) | instid1(VALU_DEP_1)
	v_div_fixup_f32 v4, v32, v30, 1.0
	v_dual_mul_f32 v5, v5, v13 :: v_dual_mul_f32 v12, v4, v39
	v_mul_f32_e32 v4, v11, v4
	v_mul_f32_e32 v10, v13, v28
	s_delay_alu instid0(VALU_DEP_3) | instskip(SKIP_4) | instid1(VALU_DEP_4)
	v_mul_f32_e64 v11, v5, -v7
	v_mul_f32_e32 v13, v5, v6
	v_mul_f32_e64 v16, v5, -v25
	v_mul_f32_e32 v33, v4, v21
	v_dual_mul_f32 v17, v5, v24 :: v_dual_mul_f32 v32, v4, v22
	v_dual_mul_f32 v28, v5, v27 :: v_dual_fmac_f32 v13, v7, v10
	v_mul_f32_e64 v29, v4, -v9
	s_delay_alu instid0(VALU_DEP_3) | instskip(SKIP_4) | instid1(VALU_DEP_4)
	v_dual_mul_f32 v30, v4, v8 :: v_dual_fmac_f32 v17, v25, v10
	v_fmac_f32_e32 v11, v6, v10
	v_mul_f32_e64 v5, v5, -v26
	v_mul_f32_e64 v31, v4, -v23
	v_fmac_f32_e32 v16, v24, v10
	v_dual_fmac_f32 v29, v8, v12 :: v_dual_sub_f32 v8, v14, v11
	v_dual_fmac_f32 v30, v9, v12 :: v_dual_sub_f32 v9, v15, v13
	v_mul_f32_e64 v34, v4, -v20
	v_fma_f32 v4, -v26, v10, v28
	v_fma_f32 v5, -v27, v10, v5
	v_fmac_f32_e32 v31, v22, v12
	v_dual_fmac_f32 v32, v23, v12 :: v_dual_sub_f32 v9, v9, v30
	v_dual_sub_f32 v10, v18, v16 :: v_dual_sub_f32 v11, v19, v17
	v_sub_f32_e32 v8, v8, v29
	v_fma_f32 v6, -v20, v12, v33
	v_fma_f32 v7, -v21, v12, v34
	s_delay_alu instid0(VALU_DEP_4)
	v_dual_sub_f32 v10, v10, v31 :: v_dual_sub_f32 v11, v11, v32
	ds_store_2addr_b64 v3, v[4:5], v[8:9] offset1:10
	ds_store_2addr_b64 v3, v[6:7], v[10:11] offset0:20 offset1:40
	s_waitcnt vmcnt(0) lgkmcnt(0)
	s_waitcnt_vscnt null, 0x0
	; wave barrier
	s_waitcnt lgkmcnt(0)
	buffer_gl0_inv
	v_cmpx_gt_u32_e32 4, v0
	s_cbranch_execz .LBB44_2
; %bb.1:
	v_add_nc_u32_e32 v0, 0x50, v3
	v_add_nc_u32_e32 v8, 0xa0, v3
	ds_load_2addr_b64 v[4:7], v0 offset1:4
	ds_load_b64 v[12:13], v8
	ds_load_b64 v[14:15], v3 offset:32
	s_waitcnt lgkmcnt(2)
	v_mul_f32_e64 v9, v5, -v7
	s_waitcnt lgkmcnt(0)
	v_mul_f32_e64 v10, v15, -v13
	v_mul_f32_e32 v8, v15, v12
	s_delay_alu instid0(VALU_DEP_2) | instskip(NEXT) | instid1(VALU_DEP_2)
	v_dual_fmac_f32 v9, v6, v4 :: v_dual_fmac_f32 v10, v12, v14
	v_fmac_f32_e32 v8, v13, v14
	s_delay_alu instid0(VALU_DEP_2) | instskip(SKIP_1) | instid1(VALU_DEP_1)
	v_sub_f32_e32 v16, v9, v10
	v_mul_f32_e32 v0, v5, v6
	v_fmac_f32_e32 v0, v7, v4
	s_delay_alu instid0(VALU_DEP_1) | instskip(SKIP_1) | instid1(VALU_DEP_2)
	v_sub_f32_e32 v0, v0, v8
	v_or_b32_e32 v8, 0x140, v3
	v_mul_f32_e32 v17, v0, v0
	ds_load_2addr_b64 v[8:11], v8 offset1:4
	s_waitcnt lgkmcnt(0)
	v_mul_f32_e64 v27, v5, -v11
	v_mul_f32_e32 v5, v5, v10
	v_mul_f32_e64 v25, v11, -v13
	v_mul_f32_e64 v22, v9, -v7
	s_delay_alu instid0(VALU_DEP_4) | instskip(NEXT) | instid1(VALU_DEP_4)
	v_fmac_f32_e32 v27, v10, v4
	v_fmac_f32_e32 v5, v11, v4
	;; [unrolled: 1-line block ×4, first 2 shown]
	s_delay_alu instid0(VALU_DEP_2) | instskip(SKIP_1) | instid1(VALU_DEP_2)
	v_div_scale_f32 v18, null, v17, v17, 1.0
	v_div_scale_f32 v21, vcc_lo, 1.0, v17, 1.0
	v_rcp_f32_e32 v19, v18
	s_waitcnt_depctr 0xfff
	v_fma_f32 v20, -v18, v19, 1.0
	s_delay_alu instid0(VALU_DEP_1) | instskip(NEXT) | instid1(VALU_DEP_1)
	v_fmac_f32_e32 v19, v20, v19
	v_mul_f32_e32 v20, v21, v19
	s_delay_alu instid0(VALU_DEP_1) | instskip(NEXT) | instid1(VALU_DEP_1)
	v_fma_f32 v23, -v18, v20, v21
	v_fmac_f32_e32 v20, v23, v19
	v_mul_f32_e64 v23, v15, -v9
	v_mul_f32_e32 v26, v11, v12
	v_mul_f32_e32 v15, v15, v8
	s_delay_alu instid0(VALU_DEP_3) | instskip(NEXT) | instid1(VALU_DEP_2)
	v_dual_fmac_f32 v23, v8, v14 :: v_dual_fmac_f32 v22, v6, v8
	v_fmac_f32_e32 v15, v9, v14
	v_fma_f32 v4, v16, 0, -v0
	v_fma_f32 v0, 0, v0, v16
	s_delay_alu instid0(VALU_DEP_4) | instskip(SKIP_2) | instid1(VALU_DEP_3)
	v_dual_sub_f32 v11, v27, v23 :: v_dual_mul_f32 v24, v9, v6
	v_sub_f32_e32 v9, v22, v25
	v_fma_f32 v6, -v18, v20, v21
	v_fmac_f32_e32 v24, v7, v8
	s_delay_alu instid0(VALU_DEP_2) | instskip(NEXT) | instid1(VALU_DEP_1)
	v_div_fmas_f32 v6, v6, v19, v20
	v_div_fixup_f32 v6, v6, v17, 1.0
	s_delay_alu instid0(VALU_DEP_1) | instskip(SKIP_3) | instid1(VALU_DEP_3)
	v_mul_f32_e32 v7, v4, v6
	v_fmac_f32_e32 v26, v13, v10
	v_mul_f32_e32 v0, v0, v6
	v_sub_f32_e32 v10, v5, v15
	v_dual_mul_f32 v5, v9, v7 :: v_dual_sub_f32 v8, v24, v26
	s_delay_alu instid0(VALU_DEP_2) | instskip(NEXT) | instid1(VALU_DEP_2)
	v_mul_f32_e64 v6, v7, -v10
	v_mul_f32_e64 v4, v7, -v8
	v_mul_f32_e32 v7, v7, v11
	s_delay_alu instid0(VALU_DEP_3) | instskip(NEXT) | instid1(VALU_DEP_3)
	v_fmac_f32_e32 v6, v11, v0
	v_fmac_f32_e32 v4, v9, v0
	s_delay_alu instid0(VALU_DEP_3)
	v_fmac_f32_e32 v7, v10, v0
	v_fmac_f32_e32 v5, v8, v0
	ds_store_2addr_b64 v3, v[4:5], v[6:7] offset0:30 offset1:34
.LBB44_2:
	s_or_b32 exec_lo, exec_lo, s0
	s_waitcnt vmcnt(0) lgkmcnt(0)
	s_waitcnt_vscnt null, 0x0
	; wave barrier
	s_waitcnt lgkmcnt(0)
	buffer_gl0_inv
	ds_load_b64 v[3:4], v3 offset:240
	s_waitcnt lgkmcnt(0)
	global_store_b64 v[1:2], v[3:4], off
	s_nop 0
	s_sendmsg sendmsg(MSG_DEALLOC_VGPRS)
	s_endpgm
	.section	.rodata,"a",@progbits
	.p2align	6, 0x0
	.amdhsa_kernel _ZN9rocsparseL49gtsv_nopivot_strided_batch_pcr_pow2_shared_kernelILj8E21rocsparse_complex_numIfEEEviiiPKT0_S5_S5_PS3_
		.amdhsa_group_segment_fixed_size 392
		.amdhsa_private_segment_fixed_size 0
		.amdhsa_kernarg_size 48
		.amdhsa_user_sgpr_count 15
		.amdhsa_user_sgpr_dispatch_ptr 0
		.amdhsa_user_sgpr_queue_ptr 0
		.amdhsa_user_sgpr_kernarg_segment_ptr 1
		.amdhsa_user_sgpr_dispatch_id 0
		.amdhsa_user_sgpr_private_segment_size 0
		.amdhsa_wavefront_size32 1
		.amdhsa_uses_dynamic_stack 0
		.amdhsa_enable_private_segment 0
		.amdhsa_system_sgpr_workgroup_id_x 1
		.amdhsa_system_sgpr_workgroup_id_y 0
		.amdhsa_system_sgpr_workgroup_id_z 0
		.amdhsa_system_sgpr_workgroup_info 0
		.amdhsa_system_vgpr_workitem_id 0
		.amdhsa_next_free_vgpr 42
		.amdhsa_next_free_sgpr 16
		.amdhsa_reserve_vcc 1
		.amdhsa_float_round_mode_32 0
		.amdhsa_float_round_mode_16_64 0
		.amdhsa_float_denorm_mode_32 3
		.amdhsa_float_denorm_mode_16_64 3
		.amdhsa_dx10_clamp 1
		.amdhsa_ieee_mode 1
		.amdhsa_fp16_overflow 0
		.amdhsa_workgroup_processor_mode 1
		.amdhsa_memory_ordered 1
		.amdhsa_forward_progress 0
		.amdhsa_shared_vgpr_count 0
		.amdhsa_exception_fp_ieee_invalid_op 0
		.amdhsa_exception_fp_denorm_src 0
		.amdhsa_exception_fp_ieee_div_zero 0
		.amdhsa_exception_fp_ieee_overflow 0
		.amdhsa_exception_fp_ieee_underflow 0
		.amdhsa_exception_fp_ieee_inexact 0
		.amdhsa_exception_int_div_zero 0
	.end_amdhsa_kernel
	.section	.text._ZN9rocsparseL49gtsv_nopivot_strided_batch_pcr_pow2_shared_kernelILj8E21rocsparse_complex_numIfEEEviiiPKT0_S5_S5_PS3_,"axG",@progbits,_ZN9rocsparseL49gtsv_nopivot_strided_batch_pcr_pow2_shared_kernelILj8E21rocsparse_complex_numIfEEEviiiPKT0_S5_S5_PS3_,comdat
.Lfunc_end44:
	.size	_ZN9rocsparseL49gtsv_nopivot_strided_batch_pcr_pow2_shared_kernelILj8E21rocsparse_complex_numIfEEEviiiPKT0_S5_S5_PS3_, .Lfunc_end44-_ZN9rocsparseL49gtsv_nopivot_strided_batch_pcr_pow2_shared_kernelILj8E21rocsparse_complex_numIfEEEviiiPKT0_S5_S5_PS3_
                                        ; -- End function
	.section	.AMDGPU.csdata,"",@progbits
; Kernel info:
; codeLenInByte = 1848
; NumSgprs: 18
; NumVgprs: 42
; ScratchSize: 0
; MemoryBound: 0
; FloatMode: 240
; IeeeMode: 1
; LDSByteSize: 392 bytes/workgroup (compile time only)
; SGPRBlocks: 2
; VGPRBlocks: 5
; NumSGPRsForWavesPerEU: 18
; NumVGPRsForWavesPerEU: 42
; Occupancy: 16
; WaveLimiterHint : 0
; COMPUTE_PGM_RSRC2:SCRATCH_EN: 0
; COMPUTE_PGM_RSRC2:USER_SGPR: 15
; COMPUTE_PGM_RSRC2:TRAP_HANDLER: 0
; COMPUTE_PGM_RSRC2:TGID_X_EN: 1
; COMPUTE_PGM_RSRC2:TGID_Y_EN: 0
; COMPUTE_PGM_RSRC2:TGID_Z_EN: 0
; COMPUTE_PGM_RSRC2:TIDIG_COMP_CNT: 0
	.section	.text._ZN9rocsparseL49gtsv_nopivot_strided_batch_pcr_pow2_shared_kernelILj16E21rocsparse_complex_numIfEEEviiiPKT0_S5_S5_PS3_,"axG",@progbits,_ZN9rocsparseL49gtsv_nopivot_strided_batch_pcr_pow2_shared_kernelILj16E21rocsparse_complex_numIfEEEviiiPKT0_S5_S5_PS3_,comdat
	.globl	_ZN9rocsparseL49gtsv_nopivot_strided_batch_pcr_pow2_shared_kernelILj16E21rocsparse_complex_numIfEEEviiiPKT0_S5_S5_PS3_ ; -- Begin function _ZN9rocsparseL49gtsv_nopivot_strided_batch_pcr_pow2_shared_kernelILj16E21rocsparse_complex_numIfEEEviiiPKT0_S5_S5_PS3_
	.p2align	8
	.type	_ZN9rocsparseL49gtsv_nopivot_strided_batch_pcr_pow2_shared_kernelILj16E21rocsparse_complex_numIfEEEviiiPKT0_S5_S5_PS3_,@function
_ZN9rocsparseL49gtsv_nopivot_strided_batch_pcr_pow2_shared_kernelILj16E21rocsparse_complex_numIfEEEviiiPKT0_S5_S5_PS3_: ; @_ZN9rocsparseL49gtsv_nopivot_strided_batch_pcr_pow2_shared_kernelILj16E21rocsparse_complex_numIfEEEviiiPKT0_S5_S5_PS3_
; %bb.0:
	s_clause 0x1
	s_load_b32 s8, s[0:1], 0x8
	s_load_b256 s[0:7], s[0:1], 0x10
	v_min_u32_e32 v13, 14, v0
	v_max_u32_e32 v39, 2, v0
	v_min_u32_e32 v37, 13, v0
	s_delay_alu instid0(VALU_DEP_3) | instskip(SKIP_2) | instid1(VALU_DEP_1)
	v_lshlrev_b32_e32 v20, 3, v13
	s_waitcnt lgkmcnt(0)
	v_mad_u64_u32 v[1:2], null, s15, s8, v[0:1]
	v_ashrrev_i32_e32 v2, 31, v1
	s_delay_alu instid0(VALU_DEP_1) | instskip(NEXT) | instid1(VALU_DEP_1)
	v_lshlrev_b64 v[1:2], 3, v[1:2]
	v_add_co_u32 v3, vcc_lo, s0, v1
	s_delay_alu instid0(VALU_DEP_2)
	v_add_co_ci_u32_e32 v4, vcc_lo, s1, v2, vcc_lo
	v_add_co_u32 v5, vcc_lo, s2, v1
	v_add_co_ci_u32_e32 v6, vcc_lo, s3, v2, vcc_lo
	v_add_co_u32 v7, vcc_lo, s4, v1
	;; [unrolled: 2-line block ×3, first 2 shown]
	v_add_co_ci_u32_e32 v2, vcc_lo, s7, v2, vcc_lo
	global_load_b64 v[9:10], v[3:4], off
	global_load_b64 v[4:5], v[5:6], off
	;; [unrolled: 1-line block ×4, first 2 shown]
	v_max_u32_e32 v8, 1, v0
	v_lshlrev_b32_e32 v3, 3, v0
	s_waitcnt vmcnt(2)
	ds_store_2addr_b64 v3, v[9:10], v[4:5] offset1:18
	s_waitcnt vmcnt(0)
	ds_store_2addr_b64 v3, v[6:7], v[11:12] offset0:36 offset1:72
	v_lshlrev_b32_e32 v24, 3, v8
	s_waitcnt vmcnt(0) lgkmcnt(0)
	s_waitcnt_vscnt null, 0x0
	; wave barrier
	s_waitcnt lgkmcnt(0)
	buffer_gl0_inv
	ds_load_2addr_b64 v[4:7], v24 offset0:17 offset1:35
	ds_load_2addr_b64 v[8:11], v20 offset0:1 offset1:19
	s_waitcnt lgkmcnt(0)
	v_dual_mul_f32 v28, v5, v5 :: v_dual_mul_f32 v29, v11, v11
	ds_load_2addr_b64 v[16:19], v3 offset0:36 offset1:72
	ds_load_2addr_b64 v[12:15], v3 offset1:18
	v_fmac_f32_e32 v29, v10, v10
	s_delay_alu instid0(VALU_DEP_1) | instskip(SKIP_1) | instid1(VALU_DEP_2)
	v_div_scale_f32 v31, null, v29, v29, 1.0
	v_div_scale_f32 v35, s0, 1.0, v29, 1.0
	v_rcp_f32_e32 v33, v31
	s_waitcnt_depctr 0xfff
	v_fma_f32 v22, -v31, v33, 1.0
	s_delay_alu instid0(VALU_DEP_1) | instskip(NEXT) | instid1(VALU_DEP_1)
	v_dual_fmac_f32 v28, v4, v4 :: v_dual_fmac_f32 v33, v22, v33
	v_div_scale_f32 v30, null, v28, v28, 1.0
	v_div_scale_f32 v34, vcc_lo, 1.0, v28, 1.0
	s_delay_alu instid0(VALU_DEP_3) | instskip(NEXT) | instid1(VALU_DEP_3)
	v_mul_f32_e32 v38, v35, v33
	v_rcp_f32_e32 v32, v30
	s_delay_alu instid0(VALU_DEP_1) | instskip(SKIP_2) | instid1(VALU_DEP_1)
	v_fma_f32 v41, -v31, v38, v35
	s_waitcnt_depctr 0xfff
	v_fma_f32 v21, -v30, v32, 1.0
	v_fmac_f32_e32 v32, v21, v32
	ds_load_2addr_b64 v[20:23], v20 offset0:37 offset1:73
	v_fmac_f32_e32 v38, v41, v33
	s_waitcnt lgkmcnt(2)
	v_mul_f32_e32 v41, v11, v17
	v_mul_f32_e64 v11, v11, -v16
	v_mul_f32_e32 v36, v34, v32
	v_add_nc_u32_e32 v26, -8, v24
	v_fma_f32 v31, -v31, v38, v35
	v_fmac_f32_e32 v41, v16, v10
	v_fmac_f32_e32 v11, v17, v10
	v_fma_f32 v40, -v30, v36, v34
	ds_load_b64 v[24:25], v24 offset:568
	ds_load_b64 v[26:27], v26
	s_waitcnt vmcnt(0) lgkmcnt(0)
	s_waitcnt_vscnt null, 0x0
	; wave barrier
	s_waitcnt lgkmcnt(0)
	buffer_gl0_inv
	v_fmac_f32_e32 v36, v40, v32
	v_mul_f32_e32 v40, v5, v13
	v_mul_f32_e64 v5, v5, -v12
	s_delay_alu instid0(VALU_DEP_3) | instskip(NEXT) | instid1(VALU_DEP_2)
	v_fma_f32 v30, -v30, v36, v34
	v_fmac_f32_e32 v5, v13, v4
	s_delay_alu instid0(VALU_DEP_2) | instskip(SKIP_3) | instid1(VALU_DEP_3)
	v_div_fmas_f32 v30, v30, v32, v36
	s_mov_b32 vcc_lo, s0
	v_div_fmas_f32 v31, v31, v33, v38
	v_min_u32_e32 v38, 11, v0
	v_div_fixup_f32 v13, v30, v28, 1.0
	s_delay_alu instid0(VALU_DEP_1) | instskip(NEXT) | instid1(VALU_DEP_4)
	v_dual_mul_f32 v5, v5, v13 :: v_dual_fmac_f32 v40, v12, v4
	v_div_fixup_f32 v4, v31, v29, 1.0
	s_delay_alu instid0(VALU_DEP_2) | instskip(NEXT) | instid1(VALU_DEP_3)
	v_dual_mul_f32 v17, v5, v24 :: v_dual_lshlrev_b32 v28, 3, v39
	v_mul_f32_e32 v10, v13, v40
	s_delay_alu instid0(VALU_DEP_3) | instskip(SKIP_4) | instid1(VALU_DEP_4)
	v_dual_mul_f32 v12, v4, v41 :: v_dual_mul_f32 v29, v5, v27
	v_dual_mul_f32 v4, v11, v4 :: v_dual_mul_f32 v13, v5, v6
	v_mul_f32_e64 v11, v5, -v7
	v_mul_f32_e64 v16, v5, -v25
	;; [unrolled: 1-line block ×4, first 2 shown]
	v_mul_f32_e32 v31, v4, v8
	v_fmac_f32_e32 v13, v7, v10
	v_max_u32_e32 v40, 4, v0
	s_delay_alu instid0(VALU_DEP_4) | instskip(NEXT) | instid1(VALU_DEP_4)
	v_fmac_f32_e32 v30, v8, v12
	v_fmac_f32_e32 v31, v9, v12
	s_delay_alu instid0(VALU_DEP_4)
	v_sub_f32_e32 v9, v15, v13
	v_fmac_f32_e32 v11, v6, v10
	v_mul_f32_e64 v32, v4, -v23
	v_mul_f32_e32 v33, v4, v22
	v_dual_mul_f32 v34, v4, v21 :: v_dual_fmac_f32 v17, v25, v10
	v_fmac_f32_e32 v16, v24, v10
	s_delay_alu instid0(VALU_DEP_3)
	v_dual_sub_f32 v8, v14, v11 :: v_dual_fmac_f32 v33, v23, v12
	v_mul_f32_e64 v35, v4, -v20
	v_fma_f32 v4, -v26, v10, v29
	v_fma_f32 v5, -v27, v10, v5
	v_dual_fmac_f32 v32, v22, v12 :: v_dual_sub_f32 v11, v19, v17
	v_dual_sub_f32 v10, v18, v16 :: v_dual_sub_f32 v9, v9, v31
	v_sub_f32_e32 v8, v8, v30
	v_fma_f32 v6, -v20, v12, v34
	s_delay_alu instid0(VALU_DEP_4)
	v_sub_f32_e32 v11, v11, v33
	v_fma_f32 v7, -v21, v12, v35
	v_sub_f32_e32 v10, v10, v32
	v_lshlrev_b32_e32 v20, 3, v37
	ds_store_2addr_b64 v3, v[4:5], v[8:9] offset1:18
	ds_store_2addr_b64 v3, v[6:7], v[10:11] offset0:36 offset1:72
	s_waitcnt vmcnt(0) lgkmcnt(0)
	s_waitcnt_vscnt null, 0x0
	; wave barrier
	s_waitcnt lgkmcnt(0)
	buffer_gl0_inv
	ds_load_2addr_b64 v[4:7], v28 offset0:16 offset1:34
	ds_load_2addr_b64 v[8:11], v20 offset0:2 offset1:20
	ds_load_2addr_b64 v[12:15], v3 offset1:18
	ds_load_2addr_b64 v[16:19], v3 offset0:36 offset1:72
	s_waitcnt lgkmcnt(3)
	v_dual_mul_f32 v29, v5, v5 :: v_dual_add_nc_u32 v26, -16, v28
	s_delay_alu instid0(VALU_DEP_1) | instskip(NEXT) | instid1(VALU_DEP_1)
	v_fmac_f32_e32 v29, v4, v4
	v_div_scale_f32 v31, null, v29, v29, 1.0
	v_div_scale_f32 v35, vcc_lo, 1.0, v29, 1.0
	s_delay_alu instid0(VALU_DEP_2) | instskip(SKIP_3) | instid1(VALU_DEP_1)
	v_rcp_f32_e32 v33, v31
	s_waitcnt_depctr 0xfff
	v_fma_f32 v21, -v31, v33, 1.0
	s_waitcnt lgkmcnt(2)
	v_dual_mul_f32 v30, v11, v11 :: v_dual_fmac_f32 v33, v21, v33
	s_delay_alu instid0(VALU_DEP_1) | instskip(NEXT) | instid1(VALU_DEP_1)
	v_dual_fmac_f32 v30, v10, v10 :: v_dual_mul_f32 v37, v35, v33
	v_div_scale_f32 v32, null, v30, v30, 1.0
	v_div_scale_f32 v36, s0, 1.0, v30, 1.0
	s_delay_alu instid0(VALU_DEP_3) | instskip(NEXT) | instid1(VALU_DEP_3)
	v_fma_f32 v41, -v31, v37, v35
	v_rcp_f32_e32 v34, v32
	s_delay_alu instid0(VALU_DEP_1) | instskip(NEXT) | instid1(VALU_DEP_1)
	v_fmac_f32_e32 v37, v41, v33
	v_fma_f32 v31, -v31, v37, v35
	s_waitcnt_depctr 0xfff
	v_fma_f32 v22, -v32, v34, 1.0
	v_div_fmas_f32 v31, v31, v33, v37
	s_delay_alu instid0(VALU_DEP_2)
	v_fmac_f32_e32 v34, v22, v34
	ds_load_2addr_b64 v[20:23], v20 offset0:38 offset1:74
	ds_load_b64 v[24:25], v28 offset:560
	ds_load_b64 v[26:27], v26
	s_mov_b32 vcc_lo, s0
	s_waitcnt lgkmcnt(0)
	v_mul_f32_e32 v39, v36, v34
	; wave barrier
	buffer_gl0_inv
	v_fma_f32 v42, -v32, v39, v36
	v_mul_f32_e32 v28, v5, v13
	v_mul_f32_e64 v5, v5, -v12
	s_delay_alu instid0(VALU_DEP_3) | instskip(NEXT) | instid1(VALU_DEP_3)
	v_fmac_f32_e32 v39, v42, v34
	v_dual_mul_f32 v41, v11, v17 :: v_dual_fmac_f32 v28, v12, v4
	v_mul_f32_e64 v11, v11, -v16
	s_delay_alu instid0(VALU_DEP_3) | instskip(NEXT) | instid1(VALU_DEP_3)
	v_fma_f32 v32, -v32, v39, v36
	v_fmac_f32_e32 v41, v16, v10
	v_fmac_f32_e32 v5, v13, v4
	v_div_fixup_f32 v13, v31, v29, 1.0
	v_fmac_f32_e32 v11, v17, v10
	v_div_fmas_f32 v32, v32, v34, v39
	s_delay_alu instid0(VALU_DEP_3) | instskip(NEXT) | instid1(VALU_DEP_2)
	v_mul_f32_e32 v10, v13, v28
	v_div_fixup_f32 v4, v32, v30, 1.0
	s_delay_alu instid0(VALU_DEP_1) | instskip(SKIP_1) | instid1(VALU_DEP_1)
	v_mul_f32_e32 v12, v4, v41
	v_dual_mul_f32 v5, v5, v13 :: v_dual_mul_f32 v4, v11, v4
	v_dual_mul_f32 v28, v5, v27 :: v_dual_lshlrev_b32 v29, 3, v40
	v_mul_f32_e64 v16, v5, -v25
	v_mul_f32_e64 v11, v5, -v7
	s_delay_alu instid0(VALU_DEP_4) | instskip(SKIP_1) | instid1(VALU_DEP_4)
	v_mul_f32_e64 v30, v4, -v9
	v_mul_f32_e32 v13, v5, v6
	v_dual_mul_f32 v17, v5, v24 :: v_dual_fmac_f32 v16, v24, v10
	v_mul_f32_e64 v5, v5, -v26
	v_mul_f32_e64 v32, v4, -v23
	v_fmac_f32_e32 v11, v6, v10
	v_mul_f32_e32 v31, v4, v8
	v_dual_fmac_f32 v30, v8, v12 :: v_dual_fmac_f32 v13, v7, v10
	s_delay_alu instid0(VALU_DEP_4)
	v_dual_mul_f32 v33, v4, v22 :: v_dual_fmac_f32 v32, v22, v12
	v_mul_f32_e32 v34, v4, v21
	v_mul_f32_e64 v35, v4, -v20
	v_fmac_f32_e32 v17, v25, v10
	v_fma_f32 v4, -v26, v10, v28
	v_fma_f32 v5, -v27, v10, v5
	v_sub_f32_e32 v10, v18, v16
	v_dual_sub_f32 v8, v14, v11 :: v_dual_fmac_f32 v31, v9, v12
	v_sub_f32_e32 v9, v15, v13
	v_fmac_f32_e32 v33, v23, v12
	s_delay_alu instid0(VALU_DEP_4) | instskip(NEXT) | instid1(VALU_DEP_3)
	v_dual_sub_f32 v10, v10, v32 :: v_dual_sub_f32 v11, v19, v17
	v_dual_sub_f32 v8, v8, v30 :: v_dual_sub_f32 v9, v9, v31
	v_fma_f32 v6, -v20, v12, v34
	v_fma_f32 v7, -v21, v12, v35
	s_delay_alu instid0(VALU_DEP_4)
	v_dual_sub_f32 v11, v11, v33 :: v_dual_lshlrev_b32 v20, 3, v38
	ds_store_2addr_b64 v3, v[4:5], v[8:9] offset1:18
	ds_store_2addr_b64 v3, v[6:7], v[10:11] offset0:36 offset1:72
	s_waitcnt vmcnt(0) lgkmcnt(0)
	s_waitcnt_vscnt null, 0x0
	; wave barrier
	s_waitcnt lgkmcnt(0)
	buffer_gl0_inv
	ds_load_2addr_b64 v[4:7], v29 offset0:14 offset1:32
	ds_load_2addr_b64 v[8:11], v20 offset0:4 offset1:22
	;; [unrolled: 1-line block ×3, first 2 shown]
	ds_load_2addr_b64 v[12:15], v3 offset1:18
	v_subrev_nc_u32_e32 v26, 32, v29
	s_waitcnt lgkmcnt(3)
	v_mul_f32_e32 v28, v5, v5
	s_delay_alu instid0(VALU_DEP_1) | instskip(NEXT) | instid1(VALU_DEP_1)
	v_fmac_f32_e32 v28, v4, v4
	v_div_scale_f32 v31, null, v28, v28, 1.0
	v_div_scale_f32 v35, vcc_lo, 1.0, v28, 1.0
	s_delay_alu instid0(VALU_DEP_2) | instskip(SKIP_3) | instid1(VALU_DEP_1)
	v_rcp_f32_e32 v33, v31
	s_waitcnt_depctr 0xfff
	v_fma_f32 v21, -v31, v33, 1.0
	s_waitcnt lgkmcnt(2)
	v_dual_mul_f32 v30, v11, v11 :: v_dual_fmac_f32 v33, v21, v33
	s_delay_alu instid0(VALU_DEP_1) | instskip(NEXT) | instid1(VALU_DEP_1)
	v_fmac_f32_e32 v30, v10, v10
	v_div_scale_f32 v32, null, v30, v30, 1.0
	v_div_scale_f32 v36, s0, 1.0, v30, 1.0
	s_delay_alu instid0(VALU_DEP_2) | instskip(SKIP_2) | instid1(VALU_DEP_1)
	v_rcp_f32_e32 v34, v32
	s_waitcnt_depctr 0xfff
	v_fma_f32 v22, -v32, v34, 1.0
	v_fmac_f32_e32 v34, v22, v34
	ds_load_2addr_b64 v[20:23], v20 offset0:40 offset1:76
	ds_load_b64 v[24:25], v29 offset:544
	ds_load_b64 v[26:27], v26
	s_waitcnt vmcnt(0) lgkmcnt(0)
	s_waitcnt_vscnt null, 0x0
	; wave barrier
	s_waitcnt lgkmcnt(0)
	buffer_gl0_inv
	v_mul_f32_e32 v38, v36, v34
	s_delay_alu instid0(VALU_DEP_1) | instskip(NEXT) | instid1(VALU_DEP_1)
	v_fma_f32 v40, -v32, v38, v36
	v_dual_mul_f32 v37, v35, v33 :: v_dual_fmac_f32 v38, v40, v34
	s_delay_alu instid0(VALU_DEP_1) | instskip(NEXT) | instid1(VALU_DEP_2)
	v_fma_f32 v39, -v31, v37, v35
	v_fma_f32 v32, -v32, v38, v36
	s_delay_alu instid0(VALU_DEP_2) | instskip(SKIP_2) | instid1(VALU_DEP_3)
	v_fmac_f32_e32 v37, v39, v33
	v_mul_f32_e32 v39, v11, v17
	v_mul_f32_e64 v11, v11, -v16
	v_fma_f32 v31, -v31, v37, v35
	s_delay_alu instid0(VALU_DEP_2) | instskip(SKIP_2) | instid1(VALU_DEP_4)
	v_fmac_f32_e32 v11, v17, v10
	v_mul_f32_e32 v29, v5, v13
	v_mul_f32_e64 v5, v5, -v12
	v_div_fmas_f32 v31, v31, v33, v37
	s_mov_b32 vcc_lo, s0
	s_mov_b32 s0, exec_lo
	v_div_fmas_f32 v32, v32, v34, v38
	v_fmac_f32_e32 v5, v13, v4
	v_div_fixup_f32 v13, v31, v28, 1.0
	v_fmac_f32_e32 v29, v12, v4
	s_delay_alu instid0(VALU_DEP_4) | instskip(NEXT) | instid1(VALU_DEP_3)
	v_div_fixup_f32 v4, v32, v30, 1.0
	v_mul_f32_e32 v5, v5, v13
	s_delay_alu instid0(VALU_DEP_1) | instskip(NEXT) | instid1(VALU_DEP_4)
	v_dual_mul_f32 v28, v5, v27 :: v_dual_fmac_f32 v39, v16, v10
	v_mul_f32_e32 v10, v13, v29
	v_mul_f32_e64 v16, v5, -v25
	s_delay_alu instid0(VALU_DEP_3) | instskip(SKIP_1) | instid1(VALU_DEP_3)
	v_mul_f32_e32 v12, v4, v39
	v_mul_f32_e32 v4, v11, v4
	v_fmac_f32_e32 v16, v24, v10
	v_mul_f32_e64 v11, v5, -v7
	s_delay_alu instid0(VALU_DEP_3) | instskip(SKIP_1) | instid1(VALU_DEP_3)
	v_mul_f32_e64 v29, v4, -v9
	v_mul_f32_e32 v32, v4, v22
	v_fmac_f32_e32 v11, v6, v10
	v_dual_mul_f32 v13, v5, v6 :: v_dual_mul_f32 v30, v4, v8
	v_mul_f32_e64 v31, v4, -v23
	s_delay_alu instid0(VALU_DEP_4) | instskip(NEXT) | instid1(VALU_DEP_4)
	v_fmac_f32_e32 v32, v23, v12
	v_dual_fmac_f32 v29, v8, v12 :: v_dual_sub_f32 v8, v14, v11
	v_mul_f32_e32 v17, v5, v24
	v_mul_f32_e64 v5, v5, -v26
	v_fmac_f32_e32 v13, v7, v10
	v_dual_mul_f32 v33, v4, v21 :: v_dual_fmac_f32 v30, v9, v12
	v_mul_f32_e64 v34, v4, -v20
	v_fma_f32 v4, -v26, v10, v28
	v_fma_f32 v5, -v27, v10, v5
	v_dual_fmac_f32 v31, v22, v12 :: v_dual_sub_f32 v8, v8, v29
	v_dual_fmac_f32 v17, v25, v10 :: v_dual_sub_f32 v10, v18, v16
	v_sub_f32_e32 v9, v15, v13
	v_fma_f32 v6, -v20, v12, v33
	v_fma_f32 v7, -v21, v12, v34
	s_delay_alu instid0(VALU_DEP_4) | instskip(NEXT) | instid1(VALU_DEP_4)
	v_dual_sub_f32 v10, v10, v31 :: v_dual_sub_f32 v11, v19, v17
	v_sub_f32_e32 v9, v9, v30
	s_delay_alu instid0(VALU_DEP_2)
	v_sub_f32_e32 v11, v11, v32
	ds_store_2addr_b64 v3, v[4:5], v[8:9] offset1:18
	ds_store_2addr_b64 v3, v[6:7], v[10:11] offset0:36 offset1:72
	s_waitcnt vmcnt(0) lgkmcnt(0)
	s_waitcnt_vscnt null, 0x0
	; wave barrier
	s_waitcnt lgkmcnt(0)
	buffer_gl0_inv
	v_cmpx_gt_u32_e32 8, v0
	s_cbranch_execz .LBB45_2
; %bb.1:
	v_add_nc_u32_e32 v0, 0x90, v3
	v_add_nc_u32_e32 v8, 0x120, v3
	ds_load_2addr_b64 v[4:7], v0 offset1:8
	ds_load_b64 v[12:13], v8
	ds_load_b64 v[14:15], v3 offset:64
	s_waitcnt lgkmcnt(2)
	v_mul_f32_e64 v9, v5, -v7
	s_waitcnt lgkmcnt(0)
	v_mul_f32_e64 v10, v15, -v13
	v_mul_f32_e32 v8, v15, v12
	s_delay_alu instid0(VALU_DEP_2) | instskip(NEXT) | instid1(VALU_DEP_2)
	v_dual_fmac_f32 v9, v6, v4 :: v_dual_fmac_f32 v10, v12, v14
	v_fmac_f32_e32 v8, v13, v14
	s_delay_alu instid0(VALU_DEP_2) | instskip(SKIP_1) | instid1(VALU_DEP_1)
	v_sub_f32_e32 v16, v9, v10
	v_mul_f32_e32 v0, v5, v6
	v_fmac_f32_e32 v0, v7, v4
	s_delay_alu instid0(VALU_DEP_1) | instskip(NEXT) | instid1(VALU_DEP_1)
	v_sub_f32_e32 v0, v0, v8
	v_dual_mul_f32 v17, v0, v0 :: v_dual_add_nc_u32 v8, 0x240, v3
	ds_load_2addr_b64 v[8:11], v8 offset1:8
	s_waitcnt lgkmcnt(0)
	v_mul_f32_e64 v27, v5, -v11
	v_mul_f32_e32 v5, v5, v10
	v_mul_f32_e64 v22, v9, -v7
	v_mul_f32_e64 v25, v11, -v13
	s_delay_alu instid0(VALU_DEP_4) | instskip(NEXT) | instid1(VALU_DEP_4)
	v_fmac_f32_e32 v27, v10, v4
	v_fmac_f32_e32 v5, v11, v4
	;; [unrolled: 1-line block ×3, first 2 shown]
	s_delay_alu instid0(VALU_DEP_4) | instskip(NEXT) | instid1(VALU_DEP_2)
	v_fmac_f32_e32 v25, v12, v10
	v_div_scale_f32 v18, null, v17, v17, 1.0
	v_div_scale_f32 v21, vcc_lo, 1.0, v17, 1.0
	s_delay_alu instid0(VALU_DEP_2) | instskip(SKIP_2) | instid1(VALU_DEP_1)
	v_rcp_f32_e32 v19, v18
	s_waitcnt_depctr 0xfff
	v_fma_f32 v20, -v18, v19, 1.0
	v_fmac_f32_e32 v19, v20, v19
	s_delay_alu instid0(VALU_DEP_1) | instskip(NEXT) | instid1(VALU_DEP_1)
	v_mul_f32_e32 v20, v21, v19
	v_fma_f32 v23, -v18, v20, v21
	s_delay_alu instid0(VALU_DEP_1) | instskip(SKIP_2) | instid1(VALU_DEP_2)
	v_fmac_f32_e32 v20, v23, v19
	v_mul_f32_e64 v23, v15, -v9
	v_mul_f32_e32 v15, v15, v8
	v_dual_fmac_f32 v23, v8, v14 :: v_dual_fmac_f32 v22, v6, v8
	v_mul_f32_e32 v24, v9, v6
	v_fma_f32 v6, -v18, v20, v21
	s_delay_alu instid0(VALU_DEP_4) | instskip(SKIP_2) | instid1(VALU_DEP_4)
	v_fmac_f32_e32 v15, v9, v14
	v_fma_f32 v4, v16, 0, -v0
	v_fma_f32 v0, 0, v0, v16
	v_div_fmas_f32 v6, v6, v19, v20
	s_delay_alu instid0(VALU_DEP_1) | instskip(SKIP_3) | instid1(VALU_DEP_4)
	v_div_fixup_f32 v6, v6, v17, 1.0
	v_mul_f32_e32 v26, v11, v12
	v_sub_f32_e32 v11, v27, v23
	v_dual_sub_f32 v9, v22, v25 :: v_dual_fmac_f32 v24, v7, v8
	v_mul_f32_e32 v7, v4, v6
	s_delay_alu instid0(VALU_DEP_4) | instskip(SKIP_1) | instid1(VALU_DEP_3)
	v_fmac_f32_e32 v26, v13, v10
	v_sub_f32_e32 v10, v5, v15
	v_dual_mul_f32 v0, v0, v6 :: v_dual_mul_f32 v5, v9, v7
	s_delay_alu instid0(VALU_DEP_3) | instskip(NEXT) | instid1(VALU_DEP_3)
	v_sub_f32_e32 v8, v24, v26
	v_mul_f32_e64 v6, v7, -v10
	s_delay_alu instid0(VALU_DEP_2) | instskip(SKIP_1) | instid1(VALU_DEP_3)
	v_mul_f32_e64 v4, v7, -v8
	v_mul_f32_e32 v7, v7, v11
	v_fmac_f32_e32 v6, v11, v0
	s_delay_alu instid0(VALU_DEP_3) | instskip(NEXT) | instid1(VALU_DEP_3)
	v_fmac_f32_e32 v4, v9, v0
	v_fmac_f32_e32 v7, v10, v0
	;; [unrolled: 1-line block ×3, first 2 shown]
	ds_store_2addr_b64 v3, v[4:5], v[6:7] offset0:54 offset1:62
.LBB45_2:
	s_or_b32 exec_lo, exec_lo, s0
	s_waitcnt vmcnt(0) lgkmcnt(0)
	s_waitcnt_vscnt null, 0x0
	; wave barrier
	s_waitcnt lgkmcnt(0)
	buffer_gl0_inv
	ds_load_b64 v[3:4], v3 offset:432
	s_waitcnt lgkmcnt(0)
	global_store_b64 v[1:2], v[3:4], off
	s_nop 0
	s_sendmsg sendmsg(MSG_DEALLOC_VGPRS)
	s_endpgm
	.section	.rodata,"a",@progbits
	.p2align	6, 0x0
	.amdhsa_kernel _ZN9rocsparseL49gtsv_nopivot_strided_batch_pcr_pow2_shared_kernelILj16E21rocsparse_complex_numIfEEEviiiPKT0_S5_S5_PS3_
		.amdhsa_group_segment_fixed_size 712
		.amdhsa_private_segment_fixed_size 0
		.amdhsa_kernarg_size 48
		.amdhsa_user_sgpr_count 15
		.amdhsa_user_sgpr_dispatch_ptr 0
		.amdhsa_user_sgpr_queue_ptr 0
		.amdhsa_user_sgpr_kernarg_segment_ptr 1
		.amdhsa_user_sgpr_dispatch_id 0
		.amdhsa_user_sgpr_private_segment_size 0
		.amdhsa_wavefront_size32 1
		.amdhsa_uses_dynamic_stack 0
		.amdhsa_enable_private_segment 0
		.amdhsa_system_sgpr_workgroup_id_x 1
		.amdhsa_system_sgpr_workgroup_id_y 0
		.amdhsa_system_sgpr_workgroup_id_z 0
		.amdhsa_system_sgpr_workgroup_info 0
		.amdhsa_system_vgpr_workitem_id 0
		.amdhsa_next_free_vgpr 43
		.amdhsa_next_free_sgpr 16
		.amdhsa_reserve_vcc 1
		.amdhsa_float_round_mode_32 0
		.amdhsa_float_round_mode_16_64 0
		.amdhsa_float_denorm_mode_32 3
		.amdhsa_float_denorm_mode_16_64 3
		.amdhsa_dx10_clamp 1
		.amdhsa_ieee_mode 1
		.amdhsa_fp16_overflow 0
		.amdhsa_workgroup_processor_mode 1
		.amdhsa_memory_ordered 1
		.amdhsa_forward_progress 0
		.amdhsa_shared_vgpr_count 0
		.amdhsa_exception_fp_ieee_invalid_op 0
		.amdhsa_exception_fp_denorm_src 0
		.amdhsa_exception_fp_ieee_div_zero 0
		.amdhsa_exception_fp_ieee_overflow 0
		.amdhsa_exception_fp_ieee_underflow 0
		.amdhsa_exception_fp_ieee_inexact 0
		.amdhsa_exception_int_div_zero 0
	.end_amdhsa_kernel
	.section	.text._ZN9rocsparseL49gtsv_nopivot_strided_batch_pcr_pow2_shared_kernelILj16E21rocsparse_complex_numIfEEEviiiPKT0_S5_S5_PS3_,"axG",@progbits,_ZN9rocsparseL49gtsv_nopivot_strided_batch_pcr_pow2_shared_kernelILj16E21rocsparse_complex_numIfEEEviiiPKT0_S5_S5_PS3_,comdat
.Lfunc_end45:
	.size	_ZN9rocsparseL49gtsv_nopivot_strided_batch_pcr_pow2_shared_kernelILj16E21rocsparse_complex_numIfEEEviiiPKT0_S5_S5_PS3_, .Lfunc_end45-_ZN9rocsparseL49gtsv_nopivot_strided_batch_pcr_pow2_shared_kernelILj16E21rocsparse_complex_numIfEEEviiiPKT0_S5_S5_PS3_
                                        ; -- End function
	.section	.AMDGPU.csdata,"",@progbits
; Kernel info:
; codeLenInByte = 2444
; NumSgprs: 18
; NumVgprs: 43
; ScratchSize: 0
; MemoryBound: 0
; FloatMode: 240
; IeeeMode: 1
; LDSByteSize: 712 bytes/workgroup (compile time only)
; SGPRBlocks: 2
; VGPRBlocks: 5
; NumSGPRsForWavesPerEU: 18
; NumVGPRsForWavesPerEU: 43
; Occupancy: 16
; WaveLimiterHint : 0
; COMPUTE_PGM_RSRC2:SCRATCH_EN: 0
; COMPUTE_PGM_RSRC2:USER_SGPR: 15
; COMPUTE_PGM_RSRC2:TRAP_HANDLER: 0
; COMPUTE_PGM_RSRC2:TGID_X_EN: 1
; COMPUTE_PGM_RSRC2:TGID_Y_EN: 0
; COMPUTE_PGM_RSRC2:TGID_Z_EN: 0
; COMPUTE_PGM_RSRC2:TIDIG_COMP_CNT: 0
	.section	.text._ZN9rocsparseL49gtsv_nopivot_strided_batch_pcr_pow2_shared_kernelILj32E21rocsparse_complex_numIfEEEviiiPKT0_S5_S5_PS3_,"axG",@progbits,_ZN9rocsparseL49gtsv_nopivot_strided_batch_pcr_pow2_shared_kernelILj32E21rocsparse_complex_numIfEEEviiiPKT0_S5_S5_PS3_,comdat
	.globl	_ZN9rocsparseL49gtsv_nopivot_strided_batch_pcr_pow2_shared_kernelILj32E21rocsparse_complex_numIfEEEviiiPKT0_S5_S5_PS3_ ; -- Begin function _ZN9rocsparseL49gtsv_nopivot_strided_batch_pcr_pow2_shared_kernelILj32E21rocsparse_complex_numIfEEEviiiPKT0_S5_S5_PS3_
	.p2align	8
	.type	_ZN9rocsparseL49gtsv_nopivot_strided_batch_pcr_pow2_shared_kernelILj32E21rocsparse_complex_numIfEEEviiiPKT0_S5_S5_PS3_,@function
_ZN9rocsparseL49gtsv_nopivot_strided_batch_pcr_pow2_shared_kernelILj32E21rocsparse_complex_numIfEEEviiiPKT0_S5_S5_PS3_: ; @_ZN9rocsparseL49gtsv_nopivot_strided_batch_pcr_pow2_shared_kernelILj32E21rocsparse_complex_numIfEEEviiiPKT0_S5_S5_PS3_
; %bb.0:
	s_clause 0x1
	s_load_b32 s8, s[0:1], 0x8
	s_load_b256 s[0:7], s[0:1], 0x10
	v_min_u32_e32 v13, 30, v0
	v_max_u32_e32 v39, 2, v0
	v_min_u32_e32 v37, 29, v0
	s_delay_alu instid0(VALU_DEP_3) | instskip(SKIP_2) | instid1(VALU_DEP_1)
	v_lshlrev_b32_e32 v20, 3, v13
	s_waitcnt lgkmcnt(0)
	v_mad_u64_u32 v[1:2], null, s15, s8, v[0:1]
	v_ashrrev_i32_e32 v2, 31, v1
	s_delay_alu instid0(VALU_DEP_1) | instskip(NEXT) | instid1(VALU_DEP_1)
	v_lshlrev_b64 v[1:2], 3, v[1:2]
	v_add_co_u32 v3, vcc_lo, s0, v1
	s_delay_alu instid0(VALU_DEP_2)
	v_add_co_ci_u32_e32 v4, vcc_lo, s1, v2, vcc_lo
	v_add_co_u32 v5, vcc_lo, s2, v1
	v_add_co_ci_u32_e32 v6, vcc_lo, s3, v2, vcc_lo
	v_add_co_u32 v7, vcc_lo, s4, v1
	;; [unrolled: 2-line block ×3, first 2 shown]
	v_add_co_ci_u32_e32 v2, vcc_lo, s7, v2, vcc_lo
	global_load_b64 v[9:10], v[3:4], off
	global_load_b64 v[4:5], v[5:6], off
	;; [unrolled: 1-line block ×4, first 2 shown]
	v_max_u32_e32 v8, 1, v0
	v_lshlrev_b32_e32 v3, 3, v0
	s_waitcnt vmcnt(2)
	ds_store_2addr_b64 v3, v[9:10], v[4:5] offset1:34
	s_waitcnt vmcnt(0)
	ds_store_2addr_b64 v3, v[6:7], v[11:12] offset0:68 offset1:136
	v_lshlrev_b32_e32 v24, 3, v8
	s_waitcnt vmcnt(0) lgkmcnt(0)
	s_waitcnt_vscnt null, 0x0
	; wave barrier
	s_waitcnt lgkmcnt(0)
	buffer_gl0_inv
	ds_load_2addr_b64 v[4:7], v24 offset0:33 offset1:67
	ds_load_2addr_b64 v[8:11], v20 offset0:1 offset1:35
	s_waitcnt lgkmcnt(0)
	v_dual_mul_f32 v28, v5, v5 :: v_dual_mul_f32 v29, v11, v11
	ds_load_2addr_b64 v[16:19], v3 offset0:68 offset1:136
	ds_load_2addr_b64 v[12:15], v3 offset1:34
	v_fmac_f32_e32 v29, v10, v10
	s_delay_alu instid0(VALU_DEP_1) | instskip(SKIP_1) | instid1(VALU_DEP_2)
	v_div_scale_f32 v31, null, v29, v29, 1.0
	v_div_scale_f32 v35, s0, 1.0, v29, 1.0
	v_rcp_f32_e32 v33, v31
	s_waitcnt_depctr 0xfff
	v_fma_f32 v22, -v31, v33, 1.0
	s_delay_alu instid0(VALU_DEP_1) | instskip(NEXT) | instid1(VALU_DEP_1)
	v_dual_fmac_f32 v28, v4, v4 :: v_dual_fmac_f32 v33, v22, v33
	v_div_scale_f32 v30, null, v28, v28, 1.0
	v_div_scale_f32 v34, vcc_lo, 1.0, v28, 1.0
	s_delay_alu instid0(VALU_DEP_3) | instskip(NEXT) | instid1(VALU_DEP_3)
	v_mul_f32_e32 v38, v35, v33
	v_rcp_f32_e32 v32, v30
	s_delay_alu instid0(VALU_DEP_1) | instskip(SKIP_2) | instid1(VALU_DEP_1)
	v_fma_f32 v41, -v31, v38, v35
	s_waitcnt_depctr 0xfff
	v_fma_f32 v21, -v30, v32, 1.0
	v_fmac_f32_e32 v32, v21, v32
	ds_load_2addr_b64 v[20:23], v20 offset0:69 offset1:137
	v_fmac_f32_e32 v38, v41, v33
	s_waitcnt lgkmcnt(2)
	v_mul_f32_e32 v41, v11, v17
	v_mul_f32_e64 v11, v11, -v16
	v_mul_f32_e32 v36, v34, v32
	v_add_nc_u32_e32 v26, -8, v24
	v_fma_f32 v31, -v31, v38, v35
	v_fmac_f32_e32 v41, v16, v10
	v_fmac_f32_e32 v11, v17, v10
	v_fma_f32 v40, -v30, v36, v34
	ds_load_b64 v[24:25], v24 offset:1080
	ds_load_b64 v[26:27], v26
	s_waitcnt vmcnt(0) lgkmcnt(0)
	s_waitcnt_vscnt null, 0x0
	; wave barrier
	s_waitcnt lgkmcnt(0)
	buffer_gl0_inv
	v_fmac_f32_e32 v36, v40, v32
	v_mul_f32_e32 v40, v5, v13
	v_mul_f32_e64 v5, v5, -v12
	s_delay_alu instid0(VALU_DEP_3) | instskip(NEXT) | instid1(VALU_DEP_2)
	v_fma_f32 v30, -v30, v36, v34
	v_fmac_f32_e32 v5, v13, v4
	s_delay_alu instid0(VALU_DEP_2) | instskip(SKIP_3) | instid1(VALU_DEP_3)
	v_div_fmas_f32 v30, v30, v32, v36
	s_mov_b32 vcc_lo, s0
	v_div_fmas_f32 v31, v31, v33, v38
	v_min_u32_e32 v38, 27, v0
	v_div_fixup_f32 v13, v30, v28, 1.0
	s_delay_alu instid0(VALU_DEP_1) | instskip(NEXT) | instid1(VALU_DEP_4)
	v_dual_mul_f32 v5, v5, v13 :: v_dual_fmac_f32 v40, v12, v4
	v_div_fixup_f32 v4, v31, v29, 1.0
	s_delay_alu instid0(VALU_DEP_2) | instskip(NEXT) | instid1(VALU_DEP_3)
	v_dual_mul_f32 v17, v5, v24 :: v_dual_lshlrev_b32 v28, 3, v39
	v_mul_f32_e32 v10, v13, v40
	s_delay_alu instid0(VALU_DEP_3) | instskip(SKIP_4) | instid1(VALU_DEP_4)
	v_dual_mul_f32 v12, v4, v41 :: v_dual_mul_f32 v29, v5, v27
	v_dual_mul_f32 v4, v11, v4 :: v_dual_mul_f32 v13, v5, v6
	v_mul_f32_e64 v11, v5, -v7
	v_mul_f32_e64 v16, v5, -v25
	;; [unrolled: 1-line block ×4, first 2 shown]
	v_mul_f32_e32 v31, v4, v8
	v_fmac_f32_e32 v13, v7, v10
	v_max_u32_e32 v40, 4, v0
	s_delay_alu instid0(VALU_DEP_4) | instskip(NEXT) | instid1(VALU_DEP_4)
	v_fmac_f32_e32 v30, v8, v12
	v_fmac_f32_e32 v31, v9, v12
	s_delay_alu instid0(VALU_DEP_4)
	v_sub_f32_e32 v9, v15, v13
	v_fmac_f32_e32 v11, v6, v10
	v_mul_f32_e64 v32, v4, -v23
	v_mul_f32_e32 v33, v4, v22
	v_dual_mul_f32 v34, v4, v21 :: v_dual_fmac_f32 v17, v25, v10
	v_fmac_f32_e32 v16, v24, v10
	s_delay_alu instid0(VALU_DEP_3)
	v_dual_sub_f32 v8, v14, v11 :: v_dual_fmac_f32 v33, v23, v12
	v_mul_f32_e64 v35, v4, -v20
	v_fma_f32 v4, -v26, v10, v29
	v_fma_f32 v5, -v27, v10, v5
	v_dual_fmac_f32 v32, v22, v12 :: v_dual_sub_f32 v11, v19, v17
	v_dual_sub_f32 v10, v18, v16 :: v_dual_sub_f32 v9, v9, v31
	v_sub_f32_e32 v8, v8, v30
	v_fma_f32 v6, -v20, v12, v34
	s_delay_alu instid0(VALU_DEP_4)
	v_sub_f32_e32 v11, v11, v33
	v_fma_f32 v7, -v21, v12, v35
	v_sub_f32_e32 v10, v10, v32
	v_lshlrev_b32_e32 v20, 3, v37
	ds_store_2addr_b64 v3, v[4:5], v[8:9] offset1:34
	ds_store_2addr_b64 v3, v[6:7], v[10:11] offset0:68 offset1:136
	s_waitcnt vmcnt(0) lgkmcnt(0)
	s_waitcnt_vscnt null, 0x0
	; wave barrier
	s_waitcnt lgkmcnt(0)
	buffer_gl0_inv
	ds_load_2addr_b64 v[4:7], v28 offset0:32 offset1:66
	ds_load_2addr_b64 v[8:11], v20 offset0:2 offset1:36
	ds_load_2addr_b64 v[12:15], v3 offset1:34
	ds_load_2addr_b64 v[16:19], v3 offset0:68 offset1:136
	s_waitcnt lgkmcnt(3)
	v_dual_mul_f32 v29, v5, v5 :: v_dual_add_nc_u32 v26, -16, v28
	s_delay_alu instid0(VALU_DEP_1) | instskip(NEXT) | instid1(VALU_DEP_1)
	v_fmac_f32_e32 v29, v4, v4
	v_div_scale_f32 v31, null, v29, v29, 1.0
	v_div_scale_f32 v35, vcc_lo, 1.0, v29, 1.0
	s_delay_alu instid0(VALU_DEP_2) | instskip(SKIP_3) | instid1(VALU_DEP_1)
	v_rcp_f32_e32 v33, v31
	s_waitcnt_depctr 0xfff
	v_fma_f32 v21, -v31, v33, 1.0
	s_waitcnt lgkmcnt(2)
	v_dual_mul_f32 v30, v11, v11 :: v_dual_fmac_f32 v33, v21, v33
	s_delay_alu instid0(VALU_DEP_1) | instskip(NEXT) | instid1(VALU_DEP_1)
	v_dual_fmac_f32 v30, v10, v10 :: v_dual_mul_f32 v37, v35, v33
	v_div_scale_f32 v32, null, v30, v30, 1.0
	v_div_scale_f32 v36, s0, 1.0, v30, 1.0
	s_delay_alu instid0(VALU_DEP_3) | instskip(NEXT) | instid1(VALU_DEP_3)
	v_fma_f32 v41, -v31, v37, v35
	v_rcp_f32_e32 v34, v32
	s_delay_alu instid0(VALU_DEP_1) | instskip(NEXT) | instid1(VALU_DEP_1)
	v_fmac_f32_e32 v37, v41, v33
	v_fma_f32 v31, -v31, v37, v35
	s_waitcnt_depctr 0xfff
	v_fma_f32 v22, -v32, v34, 1.0
	v_div_fmas_f32 v31, v31, v33, v37
	s_delay_alu instid0(VALU_DEP_2)
	v_fmac_f32_e32 v34, v22, v34
	ds_load_2addr_b64 v[20:23], v20 offset0:70 offset1:138
	ds_load_b64 v[24:25], v28 offset:1072
	ds_load_b64 v[26:27], v26
	s_mov_b32 vcc_lo, s0
	s_waitcnt lgkmcnt(0)
	v_mul_f32_e32 v39, v36, v34
	; wave barrier
	buffer_gl0_inv
	v_fma_f32 v42, -v32, v39, v36
	v_mul_f32_e32 v28, v5, v13
	v_mul_f32_e64 v5, v5, -v12
	s_delay_alu instid0(VALU_DEP_3) | instskip(NEXT) | instid1(VALU_DEP_3)
	v_fmac_f32_e32 v39, v42, v34
	v_dual_mul_f32 v41, v11, v17 :: v_dual_fmac_f32 v28, v12, v4
	v_mul_f32_e64 v11, v11, -v16
	s_delay_alu instid0(VALU_DEP_3) | instskip(NEXT) | instid1(VALU_DEP_3)
	v_fma_f32 v32, -v32, v39, v36
	v_fmac_f32_e32 v41, v16, v10
	v_fmac_f32_e32 v5, v13, v4
	v_div_fixup_f32 v13, v31, v29, 1.0
	v_fmac_f32_e32 v11, v17, v10
	v_div_fmas_f32 v32, v32, v34, v39
	s_delay_alu instid0(VALU_DEP_3) | instskip(NEXT) | instid1(VALU_DEP_2)
	v_mul_f32_e32 v10, v13, v28
	v_div_fixup_f32 v4, v32, v30, 1.0
	s_delay_alu instid0(VALU_DEP_1) | instskip(SKIP_3) | instid1(VALU_DEP_3)
	v_mul_f32_e32 v12, v4, v41
	v_dual_mul_f32 v5, v5, v13 :: v_dual_mul_f32 v4, v11, v4
	v_lshlrev_b32_e32 v29, 3, v40
	v_max_u32_e32 v40, 8, v0
	v_mul_f32_e32 v28, v5, v27
	v_mul_f32_e64 v16, v5, -v25
	v_mul_f32_e64 v11, v5, -v7
	;; [unrolled: 1-line block ×3, first 2 shown]
	v_mul_f32_e32 v13, v5, v6
	s_delay_alu instid0(VALU_DEP_4)
	v_dual_mul_f32 v17, v5, v24 :: v_dual_fmac_f32 v16, v24, v10
	v_mul_f32_e64 v5, v5, -v26
	v_mul_f32_e64 v32, v4, -v23
	v_fmac_f32_e32 v11, v6, v10
	v_mul_f32_e32 v31, v4, v8
	v_dual_fmac_f32 v30, v8, v12 :: v_dual_fmac_f32 v13, v7, v10
	s_delay_alu instid0(VALU_DEP_4)
	v_dual_mul_f32 v33, v4, v22 :: v_dual_fmac_f32 v32, v22, v12
	v_mul_f32_e32 v34, v4, v21
	v_mul_f32_e64 v35, v4, -v20
	v_fmac_f32_e32 v17, v25, v10
	v_fma_f32 v4, -v26, v10, v28
	v_fma_f32 v5, -v27, v10, v5
	v_sub_f32_e32 v10, v18, v16
	v_dual_sub_f32 v8, v14, v11 :: v_dual_fmac_f32 v31, v9, v12
	v_sub_f32_e32 v9, v15, v13
	v_fmac_f32_e32 v33, v23, v12
	s_delay_alu instid0(VALU_DEP_4) | instskip(NEXT) | instid1(VALU_DEP_3)
	v_dual_sub_f32 v10, v10, v32 :: v_dual_sub_f32 v11, v19, v17
	v_dual_sub_f32 v8, v8, v30 :: v_dual_sub_f32 v9, v9, v31
	v_fma_f32 v6, -v20, v12, v34
	v_fma_f32 v7, -v21, v12, v35
	s_delay_alu instid0(VALU_DEP_4)
	v_dual_sub_f32 v11, v11, v33 :: v_dual_lshlrev_b32 v20, 3, v38
	ds_store_2addr_b64 v3, v[4:5], v[8:9] offset1:34
	ds_store_2addr_b64 v3, v[6:7], v[10:11] offset0:68 offset1:136
	s_waitcnt vmcnt(0) lgkmcnt(0)
	s_waitcnt_vscnt null, 0x0
	; wave barrier
	s_waitcnt lgkmcnt(0)
	buffer_gl0_inv
	ds_load_2addr_b64 v[4:7], v29 offset0:30 offset1:64
	ds_load_2addr_b64 v[8:11], v20 offset0:4 offset1:38
	v_subrev_nc_u32_e32 v26, 32, v29
	ds_load_2addr_b64 v[12:15], v3 offset1:34
	ds_load_2addr_b64 v[16:19], v3 offset0:68 offset1:136
	v_min_u32_e32 v38, 23, v0
	s_waitcnt lgkmcnt(3)
	v_mul_f32_e32 v28, v5, v5
	s_delay_alu instid0(VALU_DEP_1) | instskip(NEXT) | instid1(VALU_DEP_1)
	v_fmac_f32_e32 v28, v4, v4
	v_div_scale_f32 v31, null, v28, v28, 1.0
	v_div_scale_f32 v35, vcc_lo, 1.0, v28, 1.0
	s_delay_alu instid0(VALU_DEP_2) | instskip(SKIP_3) | instid1(VALU_DEP_1)
	v_rcp_f32_e32 v33, v31
	s_waitcnt_depctr 0xfff
	v_fma_f32 v21, -v31, v33, 1.0
	s_waitcnt lgkmcnt(2)
	v_dual_mul_f32 v30, v11, v11 :: v_dual_fmac_f32 v33, v21, v33
	s_delay_alu instid0(VALU_DEP_1) | instskip(NEXT) | instid1(VALU_DEP_1)
	v_fmac_f32_e32 v30, v10, v10
	v_div_scale_f32 v32, null, v30, v30, 1.0
	v_div_scale_f32 v36, s0, 1.0, v30, 1.0
	s_delay_alu instid0(VALU_DEP_2) | instskip(SKIP_2) | instid1(VALU_DEP_1)
	v_rcp_f32_e32 v34, v32
	s_waitcnt_depctr 0xfff
	v_fma_f32 v22, -v32, v34, 1.0
	v_fmac_f32_e32 v34, v22, v34
	ds_load_2addr_b64 v[20:23], v20 offset0:72 offset1:140
	ds_load_b64 v[24:25], v29 offset:1056
	ds_load_b64 v[26:27], v26
	v_mul_f32_e32 v37, v35, v33
	s_waitcnt lgkmcnt(4)
	v_mul_f32_e32 v29, v5, v13
	v_mul_f32_e64 v5, v5, -v12
	s_waitcnt vmcnt(0) lgkmcnt(0)
	s_waitcnt_vscnt null, 0x0
	; wave barrier
	s_waitcnt lgkmcnt(0)
	buffer_gl0_inv
	v_fma_f32 v41, -v31, v37, v35
	v_fmac_f32_e32 v29, v12, v4
	v_fmac_f32_e32 v5, v13, v4
	s_delay_alu instid0(VALU_DEP_3) | instskip(SKIP_2) | instid1(VALU_DEP_3)
	v_fmac_f32_e32 v37, v41, v33
	v_mul_f32_e32 v41, v11, v17
	v_mul_f32_e64 v11, v11, -v16
	v_fma_f32 v31, -v31, v37, v35
	s_delay_alu instid0(VALU_DEP_3) | instskip(NEXT) | instid1(VALU_DEP_3)
	v_fmac_f32_e32 v41, v16, v10
	v_fmac_f32_e32 v11, v17, v10
	s_delay_alu instid0(VALU_DEP_3) | instskip(SKIP_1) | instid1(VALU_DEP_1)
	v_div_fmas_f32 v31, v31, v33, v37
	s_mov_b32 vcc_lo, s0
	v_div_fixup_f32 v13, v31, v28, 1.0
	v_dual_mul_f32 v39, v36, v34 :: v_dual_lshlrev_b32 v28, 3, v40
	s_delay_alu instid0(VALU_DEP_2) | instskip(NEXT) | instid1(VALU_DEP_2)
	v_mul_f32_e32 v10, v13, v29
	v_fma_f32 v42, -v32, v39, v36
	s_delay_alu instid0(VALU_DEP_1) | instskip(NEXT) | instid1(VALU_DEP_1)
	v_fmac_f32_e32 v39, v42, v34
	v_fma_f32 v32, -v32, v39, v36
	s_delay_alu instid0(VALU_DEP_1) | instskip(NEXT) | instid1(VALU_DEP_1)
	v_div_fmas_f32 v32, v32, v34, v39
	v_div_fixup_f32 v4, v32, v30, 1.0
	s_delay_alu instid0(VALU_DEP_1) | instskip(SKIP_1) | instid1(VALU_DEP_1)
	v_mul_f32_e32 v12, v4, v41
	v_mul_f32_e32 v4, v11, v4
	v_mul_f32_e64 v30, v4, -v9
	v_mul_f32_e32 v34, v4, v21
	v_mul_f32_e32 v31, v4, v8
	v_mul_f32_e64 v32, v4, -v23
	v_mul_f32_e32 v33, v4, v22
	v_dual_fmac_f32 v30, v8, v12 :: v_dual_mul_f32 v5, v5, v13
	v_mul_f32_e64 v35, v4, -v20
	v_fmac_f32_e32 v31, v9, v12
	v_fmac_f32_e32 v32, v22, v12
	;; [unrolled: 1-line block ×3, first 2 shown]
	v_mul_f32_e64 v11, v5, -v7
	s_delay_alu instid0(VALU_DEP_1) | instskip(NEXT) | instid1(VALU_DEP_1)
	v_fmac_f32_e32 v11, v6, v10
	v_sub_f32_e32 v8, v14, v11
	s_delay_alu instid0(VALU_DEP_1)
	v_sub_f32_e32 v8, v8, v30
	v_mul_f32_e32 v13, v5, v6
	v_mul_f32_e64 v16, v5, -v25
	v_mul_f32_e32 v17, v5, v24
	v_mul_f32_e32 v29, v5, v27
	v_mul_f32_e64 v5, v5, -v26
	v_fmac_f32_e32 v13, v7, v10
	v_fmac_f32_e32 v16, v24, v10
	v_fma_f32 v6, -v20, v12, v34
	v_lshlrev_b32_e32 v20, 3, v38
	v_fmac_f32_e32 v17, v25, v10
	v_sub_f32_e32 v9, v15, v13
	v_fma_f32 v4, -v26, v10, v29
	v_fma_f32 v5, -v27, v10, v5
	s_delay_alu instid0(VALU_DEP_4) | instskip(NEXT) | instid1(VALU_DEP_4)
	v_dual_sub_f32 v10, v18, v16 :: v_dual_sub_f32 v11, v19, v17
	v_sub_f32_e32 v9, v9, v31
	v_fma_f32 v7, -v21, v12, v35
	v_subrev_nc_u32_e32 v26, 64, v28
	s_delay_alu instid0(VALU_DEP_4)
	v_dual_sub_f32 v10, v10, v32 :: v_dual_sub_f32 v11, v11, v33
	ds_store_2addr_b64 v3, v[4:5], v[8:9] offset1:34
	ds_store_2addr_b64 v3, v[6:7], v[10:11] offset0:68 offset1:136
	s_waitcnt vmcnt(0) lgkmcnt(0)
	s_waitcnt_vscnt null, 0x0
	; wave barrier
	s_waitcnt lgkmcnt(0)
	buffer_gl0_inv
	ds_load_2addr_b64 v[4:7], v28 offset0:26 offset1:60
	ds_load_2addr_b64 v[8:11], v20 offset0:8 offset1:42
	ds_load_2addr_b64 v[12:15], v3 offset1:34
	ds_load_2addr_b64 v[16:19], v3 offset0:68 offset1:136
	s_waitcnt lgkmcnt(2)
	v_dual_mul_f32 v29, v5, v5 :: v_dual_mul_f32 v30, v11, v11
	s_delay_alu instid0(VALU_DEP_1) | instskip(NEXT) | instid1(VALU_DEP_1)
	v_dual_fmac_f32 v29, v4, v4 :: v_dual_fmac_f32 v30, v10, v10
	v_div_scale_f32 v31, null, v29, v29, 1.0
	s_delay_alu instid0(VALU_DEP_2) | instskip(SKIP_1) | instid1(VALU_DEP_3)
	v_div_scale_f32 v32, null, v30, v30, 1.0
	v_div_scale_f32 v35, vcc_lo, 1.0, v29, 1.0
	v_rcp_f32_e32 v33, v31
	s_delay_alu instid0(VALU_DEP_2) | instskip(SKIP_4) | instid1(VALU_DEP_1)
	v_rcp_f32_e32 v34, v32
	v_div_scale_f32 v36, s0, 1.0, v30, 1.0
	s_waitcnt_depctr 0xfff
	v_fma_f32 v21, -v31, v33, 1.0
	v_fma_f32 v22, -v32, v34, 1.0
	v_dual_fmac_f32 v33, v21, v33 :: v_dual_fmac_f32 v34, v22, v34
	ds_load_2addr_b64 v[20:23], v20 offset0:76 offset1:144
	ds_load_b64 v[24:25], v28 offset:1024
	ds_load_b64 v[26:27], v26
	s_waitcnt lgkmcnt(4)
	v_mul_f32_e32 v28, v5, v13
	v_dual_mul_f32 v37, v35, v33 :: v_dual_mul_f32 v38, v36, v34
	v_mul_f32_e64 v5, v5, -v12
	s_waitcnt lgkmcnt(0)
	s_delay_alu instid0(VALU_DEP_3) | instskip(NEXT) | instid1(VALU_DEP_3)
	v_fmac_f32_e32 v28, v12, v4
	v_fma_f32 v39, -v31, v37, v35
	v_fma_f32 v40, -v32, v38, v36
	v_fmac_f32_e32 v5, v13, v4
	; wave barrier
	buffer_gl0_inv
	v_dual_fmac_f32 v37, v39, v33 :: v_dual_fmac_f32 v38, v40, v34
	v_mul_f32_e32 v39, v11, v17
	v_mul_f32_e64 v11, v11, -v16
	s_delay_alu instid0(VALU_DEP_3) | instskip(NEXT) | instid1(VALU_DEP_4)
	v_fma_f32 v31, -v31, v37, v35
	v_fma_f32 v32, -v32, v38, v36
	s_delay_alu instid0(VALU_DEP_4) | instskip(NEXT) | instid1(VALU_DEP_4)
	v_fmac_f32_e32 v39, v16, v10
	v_fmac_f32_e32 v11, v17, v10
	s_delay_alu instid0(VALU_DEP_4) | instskip(SKIP_3) | instid1(VALU_DEP_2)
	v_div_fmas_f32 v31, v31, v33, v37
	s_mov_b32 vcc_lo, s0
	s_mov_b32 s0, exec_lo
	v_div_fmas_f32 v32, v32, v34, v38
	v_div_fixup_f32 v13, v31, v29, 1.0
	s_delay_alu instid0(VALU_DEP_2) | instskip(NEXT) | instid1(VALU_DEP_2)
	v_div_fixup_f32 v4, v32, v30, 1.0
	v_mul_f32_e32 v5, v5, v13
	v_mul_f32_e32 v10, v13, v28
	s_delay_alu instid0(VALU_DEP_3) | instskip(SKIP_1) | instid1(VALU_DEP_4)
	v_mul_f32_e32 v12, v4, v39
	v_mul_f32_e32 v4, v11, v4
	v_mul_f32_e64 v11, v5, -v7
	v_mul_f32_e32 v13, v5, v6
	v_mul_f32_e64 v16, v5, -v25
	;; [unrolled: 2-line block ×3, first 2 shown]
	v_dual_mul_f32 v30, v4, v8 :: v_dual_fmac_f32 v11, v6, v10
	v_dual_fmac_f32 v13, v7, v10 :: v_dual_mul_f32 v28, v5, v27
	v_mul_f32_e64 v5, v5, -v26
	v_mul_f32_e64 v31, v4, -v23
	v_mul_f32_e32 v32, v4, v22
	v_fmac_f32_e32 v16, v24, v10
	v_fmac_f32_e32 v17, v25, v10
	;; [unrolled: 1-line block ×4, first 2 shown]
	v_dual_sub_f32 v8, v14, v11 :: v_dual_sub_f32 v9, v15, v13
	v_mul_f32_e32 v33, v4, v21
	v_mul_f32_e64 v34, v4, -v20
	v_fma_f32 v4, -v26, v10, v28
	v_fma_f32 v5, -v27, v10, v5
	v_fmac_f32_e32 v31, v22, v12
	v_fmac_f32_e32 v32, v23, v12
	v_dual_sub_f32 v10, v18, v16 :: v_dual_sub_f32 v11, v19, v17
	v_dual_sub_f32 v8, v8, v29 :: v_dual_sub_f32 v9, v9, v30
	v_fma_f32 v6, -v20, v12, v33
	s_delay_alu instid0(VALU_DEP_3)
	v_sub_f32_e32 v10, v10, v31
	v_fma_f32 v7, -v21, v12, v34
	v_sub_f32_e32 v11, v11, v32
	ds_store_2addr_b64 v3, v[4:5], v[8:9] offset1:34
	ds_store_2addr_b64 v3, v[6:7], v[10:11] offset0:68 offset1:136
	s_waitcnt vmcnt(0) lgkmcnt(0)
	s_waitcnt_vscnt null, 0x0
	; wave barrier
	s_waitcnt lgkmcnt(0)
	buffer_gl0_inv
	v_cmpx_gt_u32_e32 16, v0
	s_cbranch_execz .LBB46_2
; %bb.1:
	v_add_nc_u32_e32 v0, 0x110, v3
	v_add_nc_u32_e32 v8, 0x220, v3
	ds_load_2addr_b64 v[4:7], v0 offset1:16
	ds_load_b64 v[12:13], v8
	ds_load_b64 v[14:15], v3 offset:128
	s_waitcnt lgkmcnt(2)
	v_mul_f32_e64 v9, v5, -v7
	s_waitcnt lgkmcnt(0)
	v_mul_f32_e64 v10, v15, -v13
	v_mul_f32_e32 v8, v15, v12
	s_delay_alu instid0(VALU_DEP_2) | instskip(NEXT) | instid1(VALU_DEP_2)
	v_dual_fmac_f32 v9, v6, v4 :: v_dual_fmac_f32 v10, v12, v14
	v_fmac_f32_e32 v8, v13, v14
	s_delay_alu instid0(VALU_DEP_2) | instskip(SKIP_1) | instid1(VALU_DEP_1)
	v_sub_f32_e32 v16, v9, v10
	v_mul_f32_e32 v0, v5, v6
	v_fmac_f32_e32 v0, v7, v4
	s_delay_alu instid0(VALU_DEP_1) | instskip(NEXT) | instid1(VALU_DEP_1)
	v_sub_f32_e32 v0, v0, v8
	v_dual_mul_f32 v17, v0, v0 :: v_dual_add_nc_u32 v8, 0x440, v3
	ds_load_2addr_b64 v[8:11], v8 offset1:16
	s_waitcnt lgkmcnt(0)
	v_mul_f32_e64 v27, v5, -v11
	v_mul_f32_e32 v5, v5, v10
	v_mul_f32_e64 v22, v9, -v7
	v_mul_f32_e64 v25, v11, -v13
	s_delay_alu instid0(VALU_DEP_4) | instskip(NEXT) | instid1(VALU_DEP_4)
	v_fmac_f32_e32 v27, v10, v4
	v_fmac_f32_e32 v5, v11, v4
	;; [unrolled: 1-line block ×3, first 2 shown]
	s_delay_alu instid0(VALU_DEP_4) | instskip(NEXT) | instid1(VALU_DEP_2)
	v_fmac_f32_e32 v25, v12, v10
	v_div_scale_f32 v18, null, v17, v17, 1.0
	v_div_scale_f32 v21, vcc_lo, 1.0, v17, 1.0
	s_delay_alu instid0(VALU_DEP_2) | instskip(SKIP_2) | instid1(VALU_DEP_1)
	v_rcp_f32_e32 v19, v18
	s_waitcnt_depctr 0xfff
	v_fma_f32 v20, -v18, v19, 1.0
	v_fmac_f32_e32 v19, v20, v19
	s_delay_alu instid0(VALU_DEP_1) | instskip(NEXT) | instid1(VALU_DEP_1)
	v_mul_f32_e32 v20, v21, v19
	v_fma_f32 v23, -v18, v20, v21
	s_delay_alu instid0(VALU_DEP_1) | instskip(SKIP_2) | instid1(VALU_DEP_2)
	v_fmac_f32_e32 v20, v23, v19
	v_mul_f32_e64 v23, v15, -v9
	v_mul_f32_e32 v15, v15, v8
	v_dual_fmac_f32 v23, v8, v14 :: v_dual_fmac_f32 v22, v6, v8
	v_mul_f32_e32 v24, v9, v6
	v_fma_f32 v6, -v18, v20, v21
	s_delay_alu instid0(VALU_DEP_4) | instskip(SKIP_2) | instid1(VALU_DEP_4)
	v_fmac_f32_e32 v15, v9, v14
	v_fma_f32 v4, v16, 0, -v0
	v_fma_f32 v0, 0, v0, v16
	v_div_fmas_f32 v6, v6, v19, v20
	s_delay_alu instid0(VALU_DEP_1) | instskip(SKIP_3) | instid1(VALU_DEP_4)
	v_div_fixup_f32 v6, v6, v17, 1.0
	v_mul_f32_e32 v26, v11, v12
	v_sub_f32_e32 v11, v27, v23
	v_dual_sub_f32 v9, v22, v25 :: v_dual_fmac_f32 v24, v7, v8
	v_mul_f32_e32 v7, v4, v6
	s_delay_alu instid0(VALU_DEP_4) | instskip(SKIP_1) | instid1(VALU_DEP_3)
	v_fmac_f32_e32 v26, v13, v10
	v_sub_f32_e32 v10, v5, v15
	v_dual_mul_f32 v0, v0, v6 :: v_dual_mul_f32 v5, v9, v7
	s_delay_alu instid0(VALU_DEP_3) | instskip(NEXT) | instid1(VALU_DEP_3)
	v_sub_f32_e32 v8, v24, v26
	v_mul_f32_e64 v6, v7, -v10
	s_delay_alu instid0(VALU_DEP_2) | instskip(SKIP_1) | instid1(VALU_DEP_3)
	v_mul_f32_e64 v4, v7, -v8
	v_mul_f32_e32 v7, v7, v11
	v_fmac_f32_e32 v6, v11, v0
	s_delay_alu instid0(VALU_DEP_3) | instskip(NEXT) | instid1(VALU_DEP_3)
	v_fmac_f32_e32 v4, v9, v0
	v_fmac_f32_e32 v7, v10, v0
	;; [unrolled: 1-line block ×3, first 2 shown]
	ds_store_2addr_b64 v3, v[4:5], v[6:7] offset0:102 offset1:118
.LBB46_2:
	s_or_b32 exec_lo, exec_lo, s0
	s_waitcnt vmcnt(0) lgkmcnt(0)
	s_waitcnt_vscnt null, 0x0
	; wave barrier
	s_waitcnt lgkmcnt(0)
	buffer_gl0_inv
	ds_load_b64 v[3:4], v3 offset:816
	s_waitcnt lgkmcnt(0)
	global_store_b64 v[1:2], v[3:4], off
	s_nop 0
	s_sendmsg sendmsg(MSG_DEALLOC_VGPRS)
	s_endpgm
	.section	.rodata,"a",@progbits
	.p2align	6, 0x0
	.amdhsa_kernel _ZN9rocsparseL49gtsv_nopivot_strided_batch_pcr_pow2_shared_kernelILj32E21rocsparse_complex_numIfEEEviiiPKT0_S5_S5_PS3_
		.amdhsa_group_segment_fixed_size 1352
		.amdhsa_private_segment_fixed_size 0
		.amdhsa_kernarg_size 48
		.amdhsa_user_sgpr_count 15
		.amdhsa_user_sgpr_dispatch_ptr 0
		.amdhsa_user_sgpr_queue_ptr 0
		.amdhsa_user_sgpr_kernarg_segment_ptr 1
		.amdhsa_user_sgpr_dispatch_id 0
		.amdhsa_user_sgpr_private_segment_size 0
		.amdhsa_wavefront_size32 1
		.amdhsa_uses_dynamic_stack 0
		.amdhsa_enable_private_segment 0
		.amdhsa_system_sgpr_workgroup_id_x 1
		.amdhsa_system_sgpr_workgroup_id_y 0
		.amdhsa_system_sgpr_workgroup_id_z 0
		.amdhsa_system_sgpr_workgroup_info 0
		.amdhsa_system_vgpr_workitem_id 0
		.amdhsa_next_free_vgpr 43
		.amdhsa_next_free_sgpr 16
		.amdhsa_reserve_vcc 1
		.amdhsa_float_round_mode_32 0
		.amdhsa_float_round_mode_16_64 0
		.amdhsa_float_denorm_mode_32 3
		.amdhsa_float_denorm_mode_16_64 3
		.amdhsa_dx10_clamp 1
		.amdhsa_ieee_mode 1
		.amdhsa_fp16_overflow 0
		.amdhsa_workgroup_processor_mode 1
		.amdhsa_memory_ordered 1
		.amdhsa_forward_progress 0
		.amdhsa_shared_vgpr_count 0
		.amdhsa_exception_fp_ieee_invalid_op 0
		.amdhsa_exception_fp_denorm_src 0
		.amdhsa_exception_fp_ieee_div_zero 0
		.amdhsa_exception_fp_ieee_overflow 0
		.amdhsa_exception_fp_ieee_underflow 0
		.amdhsa_exception_fp_ieee_inexact 0
		.amdhsa_exception_int_div_zero 0
	.end_amdhsa_kernel
	.section	.text._ZN9rocsparseL49gtsv_nopivot_strided_batch_pcr_pow2_shared_kernelILj32E21rocsparse_complex_numIfEEEviiiPKT0_S5_S5_PS3_,"axG",@progbits,_ZN9rocsparseL49gtsv_nopivot_strided_batch_pcr_pow2_shared_kernelILj32E21rocsparse_complex_numIfEEEviiiPKT0_S5_S5_PS3_,comdat
.Lfunc_end46:
	.size	_ZN9rocsparseL49gtsv_nopivot_strided_batch_pcr_pow2_shared_kernelILj32E21rocsparse_complex_numIfEEEviiiPKT0_S5_S5_PS3_, .Lfunc_end46-_ZN9rocsparseL49gtsv_nopivot_strided_batch_pcr_pow2_shared_kernelILj32E21rocsparse_complex_numIfEEEviiiPKT0_S5_S5_PS3_
                                        ; -- End function
	.section	.AMDGPU.csdata,"",@progbits
; Kernel info:
; codeLenInByte = 3012
; NumSgprs: 18
; NumVgprs: 43
; ScratchSize: 0
; MemoryBound: 0
; FloatMode: 240
; IeeeMode: 1
; LDSByteSize: 1352 bytes/workgroup (compile time only)
; SGPRBlocks: 2
; VGPRBlocks: 5
; NumSGPRsForWavesPerEU: 18
; NumVGPRsForWavesPerEU: 43
; Occupancy: 16
; WaveLimiterHint : 0
; COMPUTE_PGM_RSRC2:SCRATCH_EN: 0
; COMPUTE_PGM_RSRC2:USER_SGPR: 15
; COMPUTE_PGM_RSRC2:TRAP_HANDLER: 0
; COMPUTE_PGM_RSRC2:TGID_X_EN: 1
; COMPUTE_PGM_RSRC2:TGID_Y_EN: 0
; COMPUTE_PGM_RSRC2:TGID_Z_EN: 0
; COMPUTE_PGM_RSRC2:TIDIG_COMP_CNT: 0
	.section	.text._ZN9rocsparseL49gtsv_nopivot_strided_batch_pcr_pow2_shared_kernelILj64E21rocsparse_complex_numIfEEEviiiPKT0_S5_S5_PS3_,"axG",@progbits,_ZN9rocsparseL49gtsv_nopivot_strided_batch_pcr_pow2_shared_kernelILj64E21rocsparse_complex_numIfEEEviiiPKT0_S5_S5_PS3_,comdat
	.globl	_ZN9rocsparseL49gtsv_nopivot_strided_batch_pcr_pow2_shared_kernelILj64E21rocsparse_complex_numIfEEEviiiPKT0_S5_S5_PS3_ ; -- Begin function _ZN9rocsparseL49gtsv_nopivot_strided_batch_pcr_pow2_shared_kernelILj64E21rocsparse_complex_numIfEEEviiiPKT0_S5_S5_PS3_
	.p2align	8
	.type	_ZN9rocsparseL49gtsv_nopivot_strided_batch_pcr_pow2_shared_kernelILj64E21rocsparse_complex_numIfEEEviiiPKT0_S5_S5_PS3_,@function
_ZN9rocsparseL49gtsv_nopivot_strided_batch_pcr_pow2_shared_kernelILj64E21rocsparse_complex_numIfEEEviiiPKT0_S5_S5_PS3_: ; @_ZN9rocsparseL49gtsv_nopivot_strided_batch_pcr_pow2_shared_kernelILj64E21rocsparse_complex_numIfEEEviiiPKT0_S5_S5_PS3_
; %bb.0:
	s_clause 0x1
	s_load_b32 s8, s[0:1], 0x8
	s_load_b256 s[0:7], s[0:1], 0x10
	v_max_u32_e32 v13, 1, v0
	v_min_u32_e32 v14, 62, v0
	v_min_u32_e32 v37, 61, v0
	s_delay_alu instid0(VALU_DEP_3) | instskip(NEXT) | instid1(VALU_DEP_3)
	v_lshlrev_b32_e32 v25, 3, v13
	v_lshlrev_b32_e32 v21, 3, v14
	s_waitcnt lgkmcnt(0)
	v_mad_u64_u32 v[1:2], null, s15, s8, v[0:1]
	s_delay_alu instid0(VALU_DEP_1) | instskip(NEXT) | instid1(VALU_DEP_1)
	v_ashrrev_i32_e32 v2, 31, v1
	v_lshlrev_b64 v[1:2], 3, v[1:2]
	s_delay_alu instid0(VALU_DEP_1) | instskip(NEXT) | instid1(VALU_DEP_2)
	v_add_co_u32 v3, vcc_lo, s0, v1
	v_add_co_ci_u32_e32 v4, vcc_lo, s1, v2, vcc_lo
	v_add_co_u32 v5, vcc_lo, s2, v1
	v_add_co_ci_u32_e32 v6, vcc_lo, s3, v2, vcc_lo
	;; [unrolled: 2-line block ×4, first 2 shown]
	global_load_b64 v[9:10], v[3:4], off
	global_load_b64 v[5:6], v[5:6], off
	;; [unrolled: 1-line block ×4, first 2 shown]
	v_lshlrev_b32_e32 v3, 3, v0
	s_delay_alu instid0(VALU_DEP_1)
	v_add_nc_u32_e32 v4, 0x400, v3
	s_waitcnt vmcnt(2)
	ds_store_2addr_b64 v3, v[9:10], v[5:6] offset1:66
	s_waitcnt vmcnt(0)
	ds_store_2addr_b64 v4, v[7:8], v[11:12] offset0:4 offset1:136
	s_waitcnt lgkmcnt(0)
	s_barrier
	buffer_gl0_inv
	ds_load_2addr_b64 v[5:8], v25 offset0:65 offset1:131
	ds_load_2addr_b64 v[9:12], v21 offset0:1 offset1:67
	s_waitcnt lgkmcnt(0)
	v_dual_mul_f32 v29, v6, v6 :: v_dual_mul_f32 v30, v12, v12
	ds_load_2addr_b64 v[17:20], v4 offset0:4 offset1:136
	v_fmac_f32_e32 v30, v11, v11
	ds_load_2addr_b64 v[13:16], v3 offset1:66
	v_div_scale_f32 v32, null, v30, v30, 1.0
	v_div_scale_f32 v36, s0, 1.0, v30, 1.0
	s_delay_alu instid0(VALU_DEP_2) | instskip(SKIP_2) | instid1(VALU_DEP_1)
	v_rcp_f32_e32 v34, v32
	s_waitcnt_depctr 0xfff
	v_fma_f32 v23, -v32, v34, 1.0
	v_dual_fmac_f32 v29, v5, v5 :: v_dual_fmac_f32 v34, v23, v34
	s_delay_alu instid0(VALU_DEP_1) | instskip(SKIP_1) | instid1(VALU_DEP_2)
	v_div_scale_f32 v31, null, v29, v29, 1.0
	v_div_scale_f32 v35, vcc_lo, 1.0, v29, 1.0
	v_rcp_f32_e32 v33, v31
	s_waitcnt_depctr 0xfff
	v_fma_f32 v22, -v31, v33, 1.0
	s_delay_alu instid0(VALU_DEP_1) | instskip(SKIP_1) | instid1(VALU_DEP_1)
	v_fmac_f32_e32 v33, v22, v33
	v_max_u32_e32 v22, 2, v0
	v_lshlrev_b32_e32 v40, 3, v22
	s_delay_alu instid0(VALU_DEP_3) | instskip(SKIP_1) | instid1(VALU_DEP_2)
	v_mul_f32_e32 v38, v35, v33
	v_add_nc_u32_e32 v21, 0x400, v21
	v_fma_f32 v41, -v31, v38, v35
	s_delay_alu instid0(VALU_DEP_1) | instskip(NEXT) | instid1(VALU_DEP_1)
	v_dual_mul_f32 v39, v36, v34 :: v_dual_fmac_f32 v38, v41, v33
	v_fma_f32 v42, -v32, v39, v36
	s_waitcnt lgkmcnt(0)
	v_mul_f32_e32 v41, v6, v14
	v_mul_f32_e64 v6, v6, -v13
	v_fma_f32 v31, -v31, v38, v35
	v_fmac_f32_e32 v39, v42, v34
	v_dual_mul_f32 v42, v12, v18 :: v_dual_add_nc_u32 v27, -8, v25
	ds_load_2addr_b64 v[21:24], v21 offset0:5 offset1:137
	v_div_fmas_f32 v31, v31, v33, v38
	v_fma_f32 v32, -v32, v39, v36
	v_fmac_f32_e32 v42, v17, v11
	s_mov_b32 vcc_lo, s0
	ds_load_b64 v[25:26], v25 offset:2104
	ds_load_b64 v[27:28], v27
	v_mul_f32_e64 v12, v12, -v17
	v_div_fmas_f32 v32, v32, v34, v39
	v_fmac_f32_e32 v6, v14, v5
	v_div_fixup_f32 v14, v31, v29, 1.0
	s_delay_alu instid0(VALU_DEP_4) | instskip(NEXT) | instid1(VALU_DEP_4)
	v_dual_fmac_f32 v41, v13, v5 :: v_dual_fmac_f32 v12, v18, v11
	v_div_fixup_f32 v5, v32, v30, 1.0
	v_lshlrev_b32_e32 v29, 3, v37
	s_waitcnt lgkmcnt(0)
	s_delay_alu instid0(VALU_DEP_3)
	v_mul_f32_e32 v11, v14, v41
	s_barrier
	v_mul_f32_e32 v13, v5, v42
	v_dual_mul_f32 v6, v6, v14 :: v_dual_mul_f32 v5, v12, v5
	buffer_gl0_inv
	v_min_u32_e32 v38, 59, v0
	v_mul_f32_e32 v14, v6, v7
	v_mul_f32_e64 v12, v6, -v8
	v_mul_f32_e32 v32, v5, v9
	v_mul_f32_e64 v33, v5, -v24
	v_mul_f32_e64 v17, v6, -v26
	v_fmac_f32_e32 v14, v8, v11
	v_dual_mul_f32 v18, v6, v25 :: v_dual_mul_f32 v35, v5, v22
	v_mul_f32_e64 v31, v5, -v10
	v_fmac_f32_e32 v32, v10, v13
	s_delay_alu instid0(VALU_DEP_4) | instskip(NEXT) | instid1(VALU_DEP_3)
	v_dual_fmac_f32 v33, v23, v13 :: v_dual_sub_f32 v10, v16, v14
	v_dual_fmac_f32 v12, v7, v11 :: v_dual_fmac_f32 v31, v9, v13
	v_dual_mul_f32 v30, v6, v28 :: v_dual_fmac_f32 v17, v25, v11
	v_mul_f32_e64 v6, v6, -v27
	v_mul_f32_e32 v34, v5, v23
	s_delay_alu instid0(VALU_DEP_4)
	v_dual_fmac_f32 v18, v26, v11 :: v_dual_sub_f32 v9, v15, v12
	v_mul_f32_e64 v36, v5, -v21
	v_fma_f32 v5, -v27, v11, v30
	v_fma_f32 v6, -v28, v11, v6
	v_fmac_f32_e32 v34, v24, v13
	v_dual_sub_f32 v11, v19, v17 :: v_dual_sub_f32 v12, v20, v18
	v_dual_sub_f32 v9, v9, v31 :: v_dual_sub_f32 v10, v10, v32
	v_fma_f32 v7, -v21, v13, v35
	s_delay_alu instid0(VALU_DEP_3)
	v_sub_f32_e32 v11, v11, v33
	v_fma_f32 v8, -v22, v13, v36
	v_sub_f32_e32 v12, v12, v34
	ds_store_2addr_b64 v3, v[5:6], v[9:10] offset1:66
	ds_store_2addr_b64 v4, v[7:8], v[11:12] offset0:4 offset1:136
	s_waitcnt lgkmcnt(0)
	s_barrier
	buffer_gl0_inv
	ds_load_2addr_b64 v[5:8], v40 offset0:64 offset1:130
	ds_load_2addr_b64 v[9:12], v29 offset0:2 offset1:68
	ds_load_2addr_b64 v[13:16], v3 offset1:66
	ds_load_2addr_b64 v[17:20], v4 offset0:4 offset1:136
	s_waitcnt lgkmcnt(3)
	v_dual_mul_f32 v30, v6, v6 :: v_dual_add_nc_u32 v27, -16, v40
	s_waitcnt lgkmcnt(2)
	s_delay_alu instid0(VALU_DEP_1) | instskip(NEXT) | instid1(VALU_DEP_1)
	v_dual_mul_f32 v31, v12, v12 :: v_dual_fmac_f32 v30, v5, v5
	v_fmac_f32_e32 v31, v11, v11
	s_delay_alu instid0(VALU_DEP_2) | instskip(NEXT) | instid1(VALU_DEP_2)
	v_div_scale_f32 v32, null, v30, v30, 1.0
	v_div_scale_f32 v33, null, v31, v31, 1.0
	v_div_scale_f32 v36, vcc_lo, 1.0, v30, 1.0
	s_delay_alu instid0(VALU_DEP_3) | instskip(NEXT) | instid1(VALU_DEP_2)
	v_rcp_f32_e32 v34, v32
	v_rcp_f32_e32 v35, v33
	v_div_scale_f32 v37, s0, 1.0, v31, 1.0
	s_waitcnt_depctr 0xfff
	v_fma_f32 v21, -v32, v34, 1.0
	v_fma_f32 v22, -v33, v35, 1.0
	s_delay_alu instid0(VALU_DEP_2) | instskip(SKIP_1) | instid1(VALU_DEP_3)
	v_fmac_f32_e32 v34, v21, v34
	v_max_u32_e32 v21, 4, v0
	v_dual_fmac_f32 v35, v22, v35 :: v_dual_add_nc_u32 v22, 0x400, v29
	s_delay_alu instid0(VALU_DEP_2) | instskip(NEXT) | instid1(VALU_DEP_2)
	v_lshlrev_b32_e32 v41, 3, v21
	v_mul_f32_e32 v29, v37, v35
	v_mul_f32_e32 v39, v36, v34
	ds_load_2addr_b64 v[21:24], v22 offset0:6 offset1:138
	ds_load_b64 v[25:26], v40 offset:2096
	ds_load_b64 v[27:28], v27
	s_waitcnt lgkmcnt(4)
	v_mul_f32_e32 v40, v6, v14
	v_fma_f32 v43, -v33, v29, v37
	v_fma_f32 v42, -v32, v39, v36
	v_mul_f32_e64 v6, v6, -v13
	s_waitcnt lgkmcnt(0)
	s_delay_alu instid0(VALU_DEP_3) | instskip(NEXT) | instid1(VALU_DEP_3)
	v_dual_fmac_f32 v40, v13, v5 :: v_dual_fmac_f32 v29, v43, v35
	v_fmac_f32_e32 v39, v42, v34
	v_mul_f32_e32 v42, v12, v18
	v_mul_f32_e64 v12, v12, -v17
	v_fmac_f32_e32 v6, v14, v5
	v_fma_f32 v33, -v33, v29, v37
	v_fma_f32 v32, -v32, v39, v36
	s_barrier
	buffer_gl0_inv
	v_div_fmas_f32 v32, v32, v34, v39
	s_mov_b32 vcc_lo, s0
	v_div_fmas_f32 v29, v33, v35, v29
	s_delay_alu instid0(VALU_DEP_2) | instskip(SKIP_1) | instid1(VALU_DEP_3)
	v_div_fixup_f32 v14, v32, v30, 1.0
	v_fmac_f32_e32 v42, v17, v11
	v_div_fixup_f32 v5, v29, v31, 1.0
	v_dual_fmac_f32 v12, v18, v11 :: v_dual_lshlrev_b32 v29, 3, v38
	s_delay_alu instid0(VALU_DEP_4) | instskip(SKIP_1) | instid1(VALU_DEP_4)
	v_mul_f32_e32 v6, v6, v14
	v_mul_f32_e32 v11, v14, v40
	;; [unrolled: 1-line block ×3, first 2 shown]
	s_delay_alu instid0(VALU_DEP_4) | instskip(SKIP_3) | instid1(VALU_DEP_4)
	v_mul_f32_e32 v5, v12, v5
	v_min_u32_e32 v38, 55, v0
	v_mul_f32_e64 v17, v6, -v26
	v_mul_f32_e64 v12, v6, -v8
	v_dual_mul_f32 v14, v6, v7 :: v_dual_mul_f32 v35, v5, v22
	s_delay_alu instid0(VALU_DEP_3)
	v_dual_mul_f32 v18, v6, v25 :: v_dual_fmac_f32 v17, v25, v11
	v_mul_f32_e64 v31, v5, -v10
	v_mul_f32_e32 v30, v6, v28
	v_mul_f32_e64 v6, v6, -v27
	v_mul_f32_e64 v33, v5, -v24
	v_fmac_f32_e32 v12, v7, v11
	v_mul_f32_e32 v32, v5, v9
	v_fmac_f32_e32 v14, v8, v11
	s_delay_alu instid0(VALU_DEP_4)
	v_dual_mul_f32 v34, v5, v23 :: v_dual_fmac_f32 v33, v23, v13
	v_mul_f32_e64 v36, v5, -v21
	v_fmac_f32_e32 v18, v26, v11
	v_fma_f32 v6, -v28, v11, v6
	v_fmac_f32_e32 v31, v9, v13
	v_fma_f32 v5, -v27, v11, v30
	v_sub_f32_e32 v11, v19, v17
	v_dual_sub_f32 v9, v15, v12 :: v_dual_fmac_f32 v32, v10, v13
	v_sub_f32_e32 v10, v16, v14
	v_fmac_f32_e32 v34, v24, v13
	s_delay_alu instid0(VALU_DEP_4) | instskip(NEXT) | instid1(VALU_DEP_3)
	v_dual_sub_f32 v11, v11, v33 :: v_dual_sub_f32 v12, v20, v18
	v_dual_sub_f32 v9, v9, v31 :: v_dual_sub_f32 v10, v10, v32
	v_fma_f32 v7, -v21, v13, v35
	v_fma_f32 v8, -v22, v13, v36
	s_delay_alu instid0(VALU_DEP_4)
	v_sub_f32_e32 v12, v12, v34
	ds_store_2addr_b64 v3, v[5:6], v[9:10] offset1:66
	ds_store_2addr_b64 v4, v[7:8], v[11:12] offset0:4 offset1:136
	s_waitcnt lgkmcnt(0)
	s_barrier
	buffer_gl0_inv
	ds_load_2addr_b64 v[5:8], v41 offset0:62 offset1:128
	ds_load_2addr_b64 v[9:12], v29 offset0:4 offset1:70
	;; [unrolled: 1-line block ×3, first 2 shown]
	ds_load_2addr_b64 v[13:16], v3 offset1:66
	v_subrev_nc_u32_e32 v27, 32, v41
	s_waitcnt lgkmcnt(2)
	v_dual_mul_f32 v30, v6, v6 :: v_dual_mul_f32 v31, v12, v12
	s_delay_alu instid0(VALU_DEP_1) | instskip(NEXT) | instid1(VALU_DEP_1)
	v_dual_fmac_f32 v30, v5, v5 :: v_dual_fmac_f32 v31, v11, v11
	v_div_scale_f32 v32, null, v30, v30, 1.0
	s_delay_alu instid0(VALU_DEP_2) | instskip(SKIP_1) | instid1(VALU_DEP_3)
	v_div_scale_f32 v33, null, v31, v31, 1.0
	v_div_scale_f32 v36, vcc_lo, 1.0, v30, 1.0
	v_rcp_f32_e32 v34, v32
	s_delay_alu instid0(VALU_DEP_2) | instskip(SKIP_4) | instid1(VALU_DEP_1)
	v_rcp_f32_e32 v35, v33
	v_div_scale_f32 v37, s0, 1.0, v31, 1.0
	s_waitcnt_depctr 0xfff
	v_fma_f32 v21, -v32, v34, 1.0
	v_fma_f32 v22, -v33, v35, 1.0
	v_dual_fmac_f32 v34, v21, v34 :: v_dual_fmac_f32 v35, v22, v35
	v_add_nc_u32_e32 v22, 0x400, v29
	v_max_u32_e32 v21, 8, v0
	s_delay_alu instid0(VALU_DEP_3) | instskip(NEXT) | instid1(VALU_DEP_4)
	v_mul_f32_e32 v39, v36, v34
	v_mul_f32_e32 v29, v37, v35
	s_delay_alu instid0(VALU_DEP_2) | instskip(NEXT) | instid1(VALU_DEP_2)
	v_fma_f32 v42, -v32, v39, v36
	v_fma_f32 v43, -v33, v29, v37
	s_delay_alu instid0(VALU_DEP_2) | instskip(SKIP_1) | instid1(VALU_DEP_2)
	v_fmac_f32_e32 v39, v42, v34
	s_waitcnt lgkmcnt(1)
	v_dual_fmac_f32 v29, v43, v35 :: v_dual_mul_f32 v42, v12, v18
	v_mul_f32_e64 v12, v12, -v17
	s_delay_alu instid0(VALU_DEP_3) | instskip(NEXT) | instid1(VALU_DEP_3)
	v_fma_f32 v32, -v32, v39, v36
	v_fma_f32 v33, -v33, v29, v37
	s_delay_alu instid0(VALU_DEP_3) | instskip(SKIP_1) | instid1(VALU_DEP_4)
	v_fmac_f32_e32 v12, v18, v11
	v_fmac_f32_e32 v42, v17, v11
	v_div_fmas_f32 v32, v32, v34, v39
	s_mov_b32 vcc_lo, s0
	v_lshlrev_b32_e32 v40, 3, v21
	ds_load_2addr_b64 v[21:24], v22 offset0:8 offset1:140
	ds_load_b64 v[25:26], v41 offset:2080
	ds_load_b64 v[27:28], v27
	s_waitcnt lgkmcnt(3)
	v_mul_f32_e32 v41, v6, v14
	v_mul_f32_e64 v6, v6, -v13
	v_div_fmas_f32 v29, v33, v35, v29
	s_waitcnt lgkmcnt(0)
	s_barrier
	v_fmac_f32_e32 v41, v13, v5
	v_fmac_f32_e32 v6, v14, v5
	v_div_fixup_f32 v5, v29, v31, 1.0
	v_lshlrev_b32_e32 v29, 3, v38
	v_div_fixup_f32 v14, v32, v30, 1.0
	v_min_u32_e32 v38, 47, v0
	buffer_gl0_inv
	v_mul_f32_e32 v13, v5, v42
	v_mul_f32_e32 v5, v12, v5
	;; [unrolled: 1-line block ×3, first 2 shown]
	s_delay_alu instid0(VALU_DEP_2)
	v_mul_f32_e64 v31, v5, -v10
	v_mul_f32_e32 v6, v6, v14
	v_mul_f32_e64 v33, v5, -v24
	v_mul_f32_e32 v32, v5, v9
	v_mul_f32_e32 v35, v5, v22
	v_fmac_f32_e32 v31, v9, v13
	v_mul_f32_e64 v12, v6, -v8
	v_mul_f32_e64 v17, v6, -v26
	v_dual_mul_f32 v14, v6, v7 :: v_dual_fmac_f32 v33, v23, v13
	v_mul_f32_e32 v34, v5, v23
	s_delay_alu instid0(VALU_DEP_4) | instskip(NEXT) | instid1(VALU_DEP_4)
	v_fmac_f32_e32 v12, v7, v11
	v_dual_mul_f32 v18, v6, v25 :: v_dual_fmac_f32 v17, v25, v11
	v_mul_f32_e32 v30, v6, v28
	v_mul_f32_e64 v6, v6, -v27
	v_fmac_f32_e32 v14, v8, v11
	v_mul_f32_e64 v36, v5, -v21
	v_dual_sub_f32 v9, v15, v12 :: v_dual_fmac_f32 v18, v26, v11
	v_fma_f32 v5, -v27, v11, v30
	v_fma_f32 v6, -v28, v11, v6
	v_sub_f32_e32 v11, v19, v17
	s_delay_alu instid0(VALU_DEP_4) | instskip(SKIP_1) | instid1(VALU_DEP_3)
	v_dual_fmac_f32 v32, v10, v13 :: v_dual_sub_f32 v9, v9, v31
	v_sub_f32_e32 v10, v16, v14
	v_dual_sub_f32 v12, v20, v18 :: v_dual_sub_f32 v11, v11, v33
	v_fmac_f32_e32 v34, v24, v13
	v_fma_f32 v7, -v21, v13, v35
	s_delay_alu instid0(VALU_DEP_4)
	v_sub_f32_e32 v10, v10, v32
	v_fma_f32 v8, -v22, v13, v36
	v_subrev_nc_u32_e32 v27, 64, v40
	v_sub_f32_e32 v12, v12, v34
	ds_store_2addr_b64 v3, v[5:6], v[9:10] offset1:66
	ds_store_2addr_b64 v4, v[7:8], v[11:12] offset0:4 offset1:136
	s_waitcnt lgkmcnt(0)
	s_barrier
	buffer_gl0_inv
	ds_load_2addr_b64 v[5:8], v40 offset0:58 offset1:124
	ds_load_2addr_b64 v[9:12], v29 offset0:8 offset1:74
	;; [unrolled: 1-line block ×3, first 2 shown]
	ds_load_2addr_b64 v[13:16], v3 offset1:66
	s_waitcnt lgkmcnt(2)
	v_dual_mul_f32 v30, v6, v6 :: v_dual_mul_f32 v31, v12, v12
	s_delay_alu instid0(VALU_DEP_1) | instskip(NEXT) | instid1(VALU_DEP_1)
	v_dual_fmac_f32 v30, v5, v5 :: v_dual_fmac_f32 v31, v11, v11
	v_div_scale_f32 v32, null, v30, v30, 1.0
	s_delay_alu instid0(VALU_DEP_2) | instskip(SKIP_1) | instid1(VALU_DEP_3)
	v_div_scale_f32 v33, null, v31, v31, 1.0
	v_div_scale_f32 v36, vcc_lo, 1.0, v30, 1.0
	v_rcp_f32_e32 v34, v32
	s_delay_alu instid0(VALU_DEP_2) | instskip(SKIP_4) | instid1(VALU_DEP_1)
	v_rcp_f32_e32 v35, v33
	v_div_scale_f32 v37, s0, 1.0, v31, 1.0
	s_waitcnt_depctr 0xfff
	v_fma_f32 v21, -v32, v34, 1.0
	v_fma_f32 v22, -v33, v35, 1.0
	v_dual_fmac_f32 v34, v21, v34 :: v_dual_fmac_f32 v35, v22, v35
	v_max_u32_e32 v21, 16, v0
	s_delay_alu instid0(VALU_DEP_2) | instskip(NEXT) | instid1(VALU_DEP_2)
	v_mul_f32_e32 v39, v36, v34
	v_lshlrev_b32_e32 v41, 3, v21
	s_delay_alu instid0(VALU_DEP_2) | instskip(NEXT) | instid1(VALU_DEP_1)
	v_fma_f32 v42, -v32, v39, v36
	v_fmac_f32_e32 v39, v42, v34
	s_waitcnt lgkmcnt(1)
	v_mul_f32_e32 v42, v12, v18
	v_mul_f32_e64 v12, v12, -v17
	s_delay_alu instid0(VALU_DEP_3) | instskip(NEXT) | instid1(VALU_DEP_3)
	v_fma_f32 v32, -v32, v39, v36
	v_fmac_f32_e32 v42, v17, v11
	v_dual_mul_f32 v29, v37, v35 :: v_dual_add_nc_u32 v22, 0x400, v29
	s_delay_alu instid0(VALU_DEP_4) | instskip(NEXT) | instid1(VALU_DEP_4)
	v_fmac_f32_e32 v12, v18, v11
	v_div_fmas_f32 v32, v32, v34, v39
	s_mov_b32 vcc_lo, s0
	ds_load_2addr_b64 v[21:24], v22 offset0:12 offset1:144
	v_fma_f32 v43, -v33, v29, v37
	ds_load_b64 v[25:26], v40 offset:2048
	ds_load_b64 v[27:28], v27
	s_waitcnt lgkmcnt(3)
	v_mul_f32_e32 v40, v6, v14
	v_mul_f32_e64 v6, v6, -v13
	s_waitcnt lgkmcnt(0)
	v_fmac_f32_e32 v29, v43, v35
	s_barrier
	v_fmac_f32_e32 v40, v13, v5
	v_fmac_f32_e32 v6, v14, v5
	v_div_fixup_f32 v14, v32, v30, 1.0
	v_fma_f32 v33, -v33, v29, v37
	buffer_gl0_inv
	v_mul_f32_e32 v11, v14, v40
	v_div_fmas_f32 v29, v33, v35, v29
	s_delay_alu instid0(VALU_DEP_1) | instskip(SKIP_1) | instid1(VALU_DEP_2)
	v_div_fixup_f32 v5, v29, v31, 1.0
	v_lshlrev_b32_e32 v29, 3, v38
	v_mul_f32_e32 v13, v5, v42
	v_mul_f32_e32 v5, v12, v5
	s_delay_alu instid0(VALU_DEP_1)
	v_mul_f32_e32 v35, v5, v22
	v_mul_f32_e64 v31, v5, -v10
	v_mul_f32_e32 v32, v5, v9
	v_mul_f32_e64 v33, v5, -v24
	;; [unrolled: 2-line block ×3, first 2 shown]
	v_dual_fmac_f32 v31, v9, v13 :: v_dual_mul_f32 v6, v6, v14
	v_fmac_f32_e32 v32, v10, v13
	v_fmac_f32_e32 v33, v23, v13
	s_delay_alu instid0(VALU_DEP_3) | instskip(NEXT) | instid1(VALU_DEP_1)
	v_mul_f32_e64 v12, v6, -v8
	v_fmac_f32_e32 v12, v7, v11
	s_delay_alu instid0(VALU_DEP_1) | instskip(NEXT) | instid1(VALU_DEP_1)
	v_sub_f32_e32 v9, v15, v12
	v_sub_f32_e32 v9, v9, v31
	v_mul_f32_e32 v14, v6, v7
	v_mul_f32_e64 v17, v6, -v26
	v_mul_f32_e32 v18, v6, v25
	v_mul_f32_e32 v30, v6, v28
	v_mul_f32_e64 v6, v6, -v27
	v_fmac_f32_e32 v14, v8, v11
	v_fmac_f32_e32 v17, v25, v11
	;; [unrolled: 1-line block ×3, first 2 shown]
	v_fma_f32 v5, -v27, v11, v30
	v_fma_f32 v6, -v28, v11, v6
	s_delay_alu instid0(VALU_DEP_4) | instskip(NEXT) | instid1(VALU_DEP_4)
	v_dual_sub_f32 v10, v16, v14 :: v_dual_sub_f32 v11, v19, v17
	v_dual_sub_f32 v12, v20, v18 :: v_dual_add_nc_u32 v27, 0xffffff80, v41
	v_fmac_f32_e32 v34, v24, v13
	s_delay_alu instid0(VALU_DEP_3) | instskip(SKIP_2) | instid1(VALU_DEP_4)
	v_sub_f32_e32 v10, v10, v32
	v_fma_f32 v7, -v21, v13, v35
	v_fma_f32 v8, -v22, v13, v36
	v_dual_sub_f32 v11, v11, v33 :: v_dual_sub_f32 v12, v12, v34
	ds_store_2addr_b64 v3, v[5:6], v[9:10] offset1:66
	ds_store_2addr_b64 v4, v[7:8], v[11:12] offset0:4 offset1:136
	s_waitcnt lgkmcnt(0)
	s_barrier
	buffer_gl0_inv
	ds_load_2addr_b64 v[5:8], v41 offset0:50 offset1:116
	ds_load_2addr_b64 v[9:12], v29 offset0:16 offset1:82
	ds_load_2addr_b64 v[13:16], v3 offset1:66
	ds_load_2addr_b64 v[17:20], v4 offset0:4 offset1:136
	s_waitcnt lgkmcnt(2)
	v_dual_mul_f32 v30, v6, v6 :: v_dual_mul_f32 v31, v12, v12
	s_delay_alu instid0(VALU_DEP_1) | instskip(NEXT) | instid1(VALU_DEP_1)
	v_dual_fmac_f32 v30, v5, v5 :: v_dual_fmac_f32 v31, v11, v11
	v_div_scale_f32 v32, null, v30, v30, 1.0
	s_delay_alu instid0(VALU_DEP_2) | instskip(SKIP_1) | instid1(VALU_DEP_3)
	v_div_scale_f32 v33, null, v31, v31, 1.0
	v_div_scale_f32 v36, vcc_lo, 1.0, v30, 1.0
	v_rcp_f32_e32 v34, v32
	s_delay_alu instid0(VALU_DEP_2) | instskip(SKIP_4) | instid1(VALU_DEP_1)
	v_rcp_f32_e32 v35, v33
	v_div_scale_f32 v37, s0, 1.0, v31, 1.0
	s_waitcnt_depctr 0xfff
	v_fma_f32 v21, -v32, v34, 1.0
	v_fma_f32 v22, -v33, v35, 1.0
	v_dual_fmac_f32 v34, v21, v34 :: v_dual_fmac_f32 v35, v22, v35
	s_delay_alu instid0(VALU_DEP_1) | instskip(NEXT) | instid1(VALU_DEP_2)
	v_dual_mul_f32 v38, v36, v34 :: v_dual_add_nc_u32 v21, 0x400, v29
	v_mul_f32_e32 v29, v37, v35
	ds_load_2addr_b64 v[21:24], v21 offset0:20 offset1:152
	ds_load_b64 v[25:26], v41 offset:1984
	ds_load_b64 v[27:28], v27
	s_waitcnt lgkmcnt(0)
	v_fma_f32 v39, -v32, v38, v36
	v_fma_f32 v40, -v33, v29, v37
	s_barrier
	buffer_gl0_inv
	v_dual_fmac_f32 v38, v39, v34 :: v_dual_fmac_f32 v29, v40, v35
	v_mul_f32_e32 v39, v6, v14
	v_mul_f32_e64 v6, v6, -v13
	v_mul_f32_e32 v40, v12, v18
	s_delay_alu instid0(VALU_DEP_4)
	v_fma_f32 v32, -v32, v38, v36
	v_fma_f32 v33, -v33, v29, v37
	v_mul_f32_e64 v12, v12, -v17
	v_fmac_f32_e32 v6, v14, v5
	v_fmac_f32_e32 v39, v13, v5
	v_div_fmas_f32 v32, v32, v34, v38
	s_mov_b32 vcc_lo, s0
	v_fmac_f32_e32 v40, v17, v11
	v_div_fmas_f32 v29, v33, v35, v29
	v_fmac_f32_e32 v12, v18, v11
	v_div_fixup_f32 v14, v32, v30, 1.0
	v_cmp_gt_u32_e32 vcc_lo, 32, v0
	s_delay_alu instid0(VALU_DEP_4) | instskip(NEXT) | instid1(VALU_DEP_1)
	v_div_fixup_f32 v5, v29, v31, 1.0
	v_dual_mul_f32 v0, v14, v39 :: v_dual_mul_f32 v11, v5, v40
	v_mul_f32_e32 v5, v12, v5
	s_delay_alu instid0(VALU_DEP_1)
	v_mul_f32_e64 v31, v5, -v24
	v_mul_f32_e32 v33, v5, v22
	v_mul_f32_e64 v29, v5, -v10
	v_mul_f32_e32 v30, v5, v9
	v_mul_f32_e32 v32, v5, v23
	v_dual_fmac_f32 v31, v23, v11 :: v_dual_mul_f32 v6, v6, v14
	v_mul_f32_e64 v34, v5, -v21
	v_fmac_f32_e32 v29, v9, v11
	v_fmac_f32_e32 v30, v10, v11
	;; [unrolled: 1-line block ×3, first 2 shown]
	v_mul_f32_e64 v12, v6, -v8
	v_mul_f32_e32 v13, v6, v7
	v_mul_f32_e64 v14, v6, -v26
	v_mul_f32_e32 v17, v6, v25
	v_mul_f32_e32 v18, v6, v28
	v_mul_f32_e64 v6, v6, -v27
	v_fmac_f32_e32 v12, v7, v0
	v_fmac_f32_e32 v13, v8, v0
	;; [unrolled: 1-line block ×4, first 2 shown]
	v_fma_f32 v5, -v27, v0, v18
	v_fma_f32 v6, -v28, v0, v6
	v_sub_f32_e32 v0, v15, v12
	v_sub_f32_e32 v10, v16, v13
	v_dual_sub_f32 v12, v19, v14 :: v_dual_sub_f32 v13, v20, v17
	v_fma_f32 v7, -v21, v11, v33
	s_delay_alu instid0(VALU_DEP_3) | instskip(SKIP_1) | instid1(VALU_DEP_4)
	v_dual_sub_f32 v9, v0, v29 :: v_dual_sub_f32 v10, v10, v30
	v_fma_f32 v8, -v22, v11, v34
	v_dual_sub_f32 v11, v12, v31 :: v_dual_sub_f32 v12, v13, v32
	ds_store_2addr_b64 v3, v[5:6], v[9:10] offset1:66
	ds_store_2addr_b64 v4, v[7:8], v[11:12] offset0:4 offset1:136
	s_waitcnt lgkmcnt(0)
	s_barrier
	buffer_gl0_inv
	s_and_saveexec_b32 s0, vcc_lo
	s_cbranch_execz .LBB47_2
; %bb.1:
	v_add_nc_u32_e32 v0, 0x210, v3
	v_add_nc_u32_e32 v8, 0x420, v3
	ds_load_2addr_b64 v[4:7], v0 offset1:32
	ds_load_b64 v[12:13], v8
	ds_load_b64 v[14:15], v3 offset:256
	s_waitcnt lgkmcnt(2)
	v_mul_f32_e64 v9, v5, -v7
	s_waitcnt lgkmcnt(0)
	v_mul_f32_e64 v10, v15, -v13
	v_mul_f32_e32 v8, v15, v12
	s_delay_alu instid0(VALU_DEP_2) | instskip(NEXT) | instid1(VALU_DEP_2)
	v_dual_fmac_f32 v9, v6, v4 :: v_dual_fmac_f32 v10, v12, v14
	v_fmac_f32_e32 v8, v13, v14
	s_delay_alu instid0(VALU_DEP_2) | instskip(SKIP_1) | instid1(VALU_DEP_1)
	v_sub_f32_e32 v16, v9, v10
	v_mul_f32_e32 v0, v5, v6
	v_fmac_f32_e32 v0, v7, v4
	s_delay_alu instid0(VALU_DEP_1) | instskip(NEXT) | instid1(VALU_DEP_1)
	v_sub_f32_e32 v0, v0, v8
	v_dual_mul_f32 v17, v0, v0 :: v_dual_add_nc_u32 v8, 0x840, v3
	ds_load_2addr_b64 v[8:11], v8 offset1:32
	s_waitcnt lgkmcnt(0)
	v_mul_f32_e64 v27, v5, -v11
	v_mul_f32_e32 v5, v5, v10
	v_mul_f32_e64 v22, v9, -v7
	v_mul_f32_e64 v25, v11, -v13
	s_delay_alu instid0(VALU_DEP_4) | instskip(NEXT) | instid1(VALU_DEP_4)
	v_fmac_f32_e32 v27, v10, v4
	v_fmac_f32_e32 v5, v11, v4
	;; [unrolled: 1-line block ×3, first 2 shown]
	s_delay_alu instid0(VALU_DEP_4) | instskip(NEXT) | instid1(VALU_DEP_2)
	v_fmac_f32_e32 v25, v12, v10
	v_div_scale_f32 v18, null, v17, v17, 1.0
	v_div_scale_f32 v21, vcc_lo, 1.0, v17, 1.0
	s_delay_alu instid0(VALU_DEP_2) | instskip(SKIP_2) | instid1(VALU_DEP_1)
	v_rcp_f32_e32 v19, v18
	s_waitcnt_depctr 0xfff
	v_fma_f32 v20, -v18, v19, 1.0
	v_fmac_f32_e32 v19, v20, v19
	s_delay_alu instid0(VALU_DEP_1) | instskip(NEXT) | instid1(VALU_DEP_1)
	v_mul_f32_e32 v20, v21, v19
	v_fma_f32 v23, -v18, v20, v21
	s_delay_alu instid0(VALU_DEP_1) | instskip(SKIP_2) | instid1(VALU_DEP_2)
	v_fmac_f32_e32 v20, v23, v19
	v_mul_f32_e64 v23, v15, -v9
	v_mul_f32_e32 v15, v15, v8
	v_dual_fmac_f32 v23, v8, v14 :: v_dual_fmac_f32 v22, v6, v8
	v_mul_f32_e32 v24, v9, v6
	v_fma_f32 v6, -v18, v20, v21
	s_delay_alu instid0(VALU_DEP_4) | instskip(SKIP_2) | instid1(VALU_DEP_4)
	v_fmac_f32_e32 v15, v9, v14
	v_fma_f32 v4, v16, 0, -v0
	v_fma_f32 v0, 0, v0, v16
	v_div_fmas_f32 v6, v6, v19, v20
	s_delay_alu instid0(VALU_DEP_1) | instskip(SKIP_3) | instid1(VALU_DEP_4)
	v_div_fixup_f32 v6, v6, v17, 1.0
	v_mul_f32_e32 v26, v11, v12
	v_sub_f32_e32 v11, v27, v23
	v_dual_sub_f32 v9, v22, v25 :: v_dual_fmac_f32 v24, v7, v8
	v_mul_f32_e32 v7, v4, v6
	s_delay_alu instid0(VALU_DEP_4) | instskip(SKIP_1) | instid1(VALU_DEP_3)
	v_fmac_f32_e32 v26, v13, v10
	v_sub_f32_e32 v10, v5, v15
	v_dual_mul_f32 v0, v0, v6 :: v_dual_mul_f32 v5, v9, v7
	s_delay_alu instid0(VALU_DEP_3) | instskip(NEXT) | instid1(VALU_DEP_3)
	v_sub_f32_e32 v8, v24, v26
	v_mul_f32_e64 v6, v7, -v10
	s_delay_alu instid0(VALU_DEP_2) | instskip(SKIP_1) | instid1(VALU_DEP_3)
	v_mul_f32_e64 v4, v7, -v8
	v_mul_f32_e32 v7, v7, v11
	v_fmac_f32_e32 v6, v11, v0
	s_delay_alu instid0(VALU_DEP_3) | instskip(NEXT) | instid1(VALU_DEP_3)
	v_fmac_f32_e32 v4, v9, v0
	v_fmac_f32_e32 v7, v10, v0
	;; [unrolled: 1-line block ×3, first 2 shown]
	ds_store_2addr_b64 v3, v[4:5], v[6:7] offset0:198 offset1:230
.LBB47_2:
	s_or_b32 exec_lo, exec_lo, s0
	s_waitcnt lgkmcnt(0)
	s_barrier
	buffer_gl0_inv
	ds_load_b64 v[3:4], v3 offset:1584
	s_waitcnt lgkmcnt(0)
	global_store_b64 v[1:2], v[3:4], off
	s_nop 0
	s_sendmsg sendmsg(MSG_DEALLOC_VGPRS)
	s_endpgm
	.section	.rodata,"a",@progbits
	.p2align	6, 0x0
	.amdhsa_kernel _ZN9rocsparseL49gtsv_nopivot_strided_batch_pcr_pow2_shared_kernelILj64E21rocsparse_complex_numIfEEEviiiPKT0_S5_S5_PS3_
		.amdhsa_group_segment_fixed_size 2632
		.amdhsa_private_segment_fixed_size 0
		.amdhsa_kernarg_size 48
		.amdhsa_user_sgpr_count 15
		.amdhsa_user_sgpr_dispatch_ptr 0
		.amdhsa_user_sgpr_queue_ptr 0
		.amdhsa_user_sgpr_kernarg_segment_ptr 1
		.amdhsa_user_sgpr_dispatch_id 0
		.amdhsa_user_sgpr_private_segment_size 0
		.amdhsa_wavefront_size32 1
		.amdhsa_uses_dynamic_stack 0
		.amdhsa_enable_private_segment 0
		.amdhsa_system_sgpr_workgroup_id_x 1
		.amdhsa_system_sgpr_workgroup_id_y 0
		.amdhsa_system_sgpr_workgroup_id_z 0
		.amdhsa_system_sgpr_workgroup_info 0
		.amdhsa_system_vgpr_workitem_id 0
		.amdhsa_next_free_vgpr 44
		.amdhsa_next_free_sgpr 16
		.amdhsa_reserve_vcc 1
		.amdhsa_float_round_mode_32 0
		.amdhsa_float_round_mode_16_64 0
		.amdhsa_float_denorm_mode_32 3
		.amdhsa_float_denorm_mode_16_64 3
		.amdhsa_dx10_clamp 1
		.amdhsa_ieee_mode 1
		.amdhsa_fp16_overflow 0
		.amdhsa_workgroup_processor_mode 1
		.amdhsa_memory_ordered 1
		.amdhsa_forward_progress 0
		.amdhsa_shared_vgpr_count 0
		.amdhsa_exception_fp_ieee_invalid_op 0
		.amdhsa_exception_fp_denorm_src 0
		.amdhsa_exception_fp_ieee_div_zero 0
		.amdhsa_exception_fp_ieee_overflow 0
		.amdhsa_exception_fp_ieee_underflow 0
		.amdhsa_exception_fp_ieee_inexact 0
		.amdhsa_exception_int_div_zero 0
	.end_amdhsa_kernel
	.section	.text._ZN9rocsparseL49gtsv_nopivot_strided_batch_pcr_pow2_shared_kernelILj64E21rocsparse_complex_numIfEEEviiiPKT0_S5_S5_PS3_,"axG",@progbits,_ZN9rocsparseL49gtsv_nopivot_strided_batch_pcr_pow2_shared_kernelILj64E21rocsparse_complex_numIfEEEviiiPKT0_S5_S5_PS3_,comdat
.Lfunc_end47:
	.size	_ZN9rocsparseL49gtsv_nopivot_strided_batch_pcr_pow2_shared_kernelILj64E21rocsparse_complex_numIfEEEviiiPKT0_S5_S5_PS3_, .Lfunc_end47-_ZN9rocsparseL49gtsv_nopivot_strided_batch_pcr_pow2_shared_kernelILj64E21rocsparse_complex_numIfEEEviiiPKT0_S5_S5_PS3_
                                        ; -- End function
	.section	.AMDGPU.csdata,"",@progbits
; Kernel info:
; codeLenInByte = 3580
; NumSgprs: 18
; NumVgprs: 44
; ScratchSize: 0
; MemoryBound: 0
; FloatMode: 240
; IeeeMode: 1
; LDSByteSize: 2632 bytes/workgroup (compile time only)
; SGPRBlocks: 2
; VGPRBlocks: 5
; NumSGPRsForWavesPerEU: 18
; NumVGPRsForWavesPerEU: 44
; Occupancy: 16
; WaveLimiterHint : 0
; COMPUTE_PGM_RSRC2:SCRATCH_EN: 0
; COMPUTE_PGM_RSRC2:USER_SGPR: 15
; COMPUTE_PGM_RSRC2:TRAP_HANDLER: 0
; COMPUTE_PGM_RSRC2:TGID_X_EN: 1
; COMPUTE_PGM_RSRC2:TGID_Y_EN: 0
; COMPUTE_PGM_RSRC2:TGID_Z_EN: 0
; COMPUTE_PGM_RSRC2:TIDIG_COMP_CNT: 0
	.section	.text._ZN9rocsparseL51gtsv_nopivot_strided_batch_crpcr_pow2_shared_kernelILj64ELj64E21rocsparse_complex_numIfEEEviiiPKT1_S5_S5_PS3_,"axG",@progbits,_ZN9rocsparseL51gtsv_nopivot_strided_batch_crpcr_pow2_shared_kernelILj64ELj64E21rocsparse_complex_numIfEEEviiiPKT1_S5_S5_PS3_,comdat
	.globl	_ZN9rocsparseL51gtsv_nopivot_strided_batch_crpcr_pow2_shared_kernelILj64ELj64E21rocsparse_complex_numIfEEEviiiPKT1_S5_S5_PS3_ ; -- Begin function _ZN9rocsparseL51gtsv_nopivot_strided_batch_crpcr_pow2_shared_kernelILj64ELj64E21rocsparse_complex_numIfEEEviiiPKT1_S5_S5_PS3_
	.p2align	8
	.type	_ZN9rocsparseL51gtsv_nopivot_strided_batch_crpcr_pow2_shared_kernelILj64ELj64E21rocsparse_complex_numIfEEEviiiPKT1_S5_S5_PS3_,@function
_ZN9rocsparseL51gtsv_nopivot_strided_batch_crpcr_pow2_shared_kernelILj64ELj64E21rocsparse_complex_numIfEEEviiiPKT1_S5_S5_PS3_: ; @_ZN9rocsparseL51gtsv_nopivot_strided_batch_crpcr_pow2_shared_kernelILj64ELj64E21rocsparse_complex_numIfEEEviiiPKT1_S5_S5_PS3_
; %bb.0:
	s_clause 0x1
	s_load_b32 s8, s[0:1], 0x8
	s_load_b256 s[0:7], s[0:1], 0x10
	s_waitcnt lgkmcnt(0)
	v_mad_u64_u32 v[1:2], null, s15, s8, v[0:1]
	s_delay_alu instid0(VALU_DEP_1) | instskip(SKIP_1) | instid1(VALU_DEP_2)
	v_dual_mov_b32 v4, 0 :: v_dual_add_nc_u32 v3, 64, v1
	v_ashrrev_i32_e32 v2, 31, v1
	v_lshlrev_b64 v[3:4], 3, v[3:4]
	s_delay_alu instid0(VALU_DEP_2) | instskip(NEXT) | instid1(VALU_DEP_1)
	v_lshlrev_b64 v[1:2], 3, v[1:2]
	v_add_co_u32 v5, vcc_lo, s0, v1
	s_delay_alu instid0(VALU_DEP_2) | instskip(NEXT) | instid1(VALU_DEP_4)
	v_add_co_ci_u32_e32 v6, vcc_lo, s1, v2, vcc_lo
	v_add_co_u32 v7, vcc_lo, s0, v3
	v_add_co_ci_u32_e32 v8, vcc_lo, s1, v4, vcc_lo
	v_add_co_u32 v9, vcc_lo, s2, v1
	;; [unrolled: 2-line block ×7, first 2 shown]
	v_add_co_ci_u32_e32 v4, vcc_lo, s7, v4, vcc_lo
	s_clause 0x1
	global_load_b64 v[5:6], v[5:6], off
	global_load_b64 v[7:8], v[7:8], off
	s_clause 0x1
	global_load_b64 v[9:10], v[9:10], off
	global_load_b64 v[11:12], v[11:12], off
	;; [unrolled: 3-line block ×4, first 2 shown]
	v_lshlrev_b32_e32 v13, 3, v0
	v_cmp_gt_u32_e64 s0, 64, v0
	v_lshlrev_b32_e32 v14, 1, v0
	s_waitcnt vmcnt(6)
	ds_store_2addr_stride64_b64 v13, v[5:6], v[7:8] offset1:1
	s_waitcnt vmcnt(4)
	ds_store_2addr_stride64_b64 v13, v[9:10], v[11:12] offset0:2 offset1:3
	s_waitcnt vmcnt(2)
	ds_store_2addr_stride64_b64 v13, v[17:18], v[15:16] offset0:4 offset1:5
	;; [unrolled: 2-line block ×3, first 2 shown]
	s_waitcnt lgkmcnt(0)
	s_barrier
	buffer_gl0_inv
	s_and_saveexec_b32 s2, s0
	s_cbranch_execz .LBB48_2
; %bb.1:
	v_or_b32_e32 v5, 0x400, v13
	v_min_u32_e32 v6, 0x7d, v14
	v_or_b32_e32 v19, 0x800, v13
	s_delay_alu instid0(VALU_DEP_3) | instskip(NEXT) | instid1(VALU_DEP_3)
	v_add_nc_u32_e32 v31, v5, v13
	v_lshlrev_b32_e32 v23, 3, v6
	ds_load_2addr_b64 v[5:8], v31 offset1:1
	ds_load_2addr_b64 v[9:12], v23 offset0:2 offset1:130
	s_waitcnt lgkmcnt(1)
	v_mul_f32_e32 v32, v6, v6
	s_delay_alu instid0(VALU_DEP_1) | instskip(NEXT) | instid1(VALU_DEP_1)
	v_fmac_f32_e32 v32, v5, v5
	v_div_scale_f32 v34, null, v32, v32, 1.0
	v_div_scale_f32 v40, vcc_lo, 1.0, v32, 1.0
	s_delay_alu instid0(VALU_DEP_2) | instskip(SKIP_2) | instid1(VALU_DEP_1)
	v_rcp_f32_e32 v36, v34
	s_waitcnt_depctr 0xfff
	v_fma_f32 v20, -v34, v36, 1.0
	v_dual_fmac_f32 v36, v20, v36 :: v_dual_add_nc_u32 v37, v13, v13
	ds_load_2addr_b64 v[15:18], v37 offset1:1
	v_dual_mul_f32 v42, v40, v36 :: v_dual_add_nc_u32 v39, v19, v13
	ds_load_b128 v[19:22], v39
	v_fma_f32 v45, -v34, v42, v40
	s_delay_alu instid0(VALU_DEP_1) | instskip(NEXT) | instid1(VALU_DEP_1)
	v_dual_fmac_f32 v42, v45, v36 :: v_dual_add_nc_u32 v27, 16, v23
	v_fma_f32 v34, -v34, v42, v40
	s_waitcnt lgkmcnt(1)
	v_mul_f32_e32 v45, v6, v18
	v_mul_f32_e64 v6, v6, -v17
	v_mul_f32_e32 v33, v12, v12
	v_div_fmas_f32 v34, v34, v36, v42
	s_delay_alu instid0(VALU_DEP_2) | instskip(NEXT) | instid1(VALU_DEP_2)
	v_dual_fmac_f32 v6, v18, v5 :: v_dual_fmac_f32 v33, v11, v11
	v_div_fixup_f32 v18, v34, v32, 1.0
	s_delay_alu instid0(VALU_DEP_2) | instskip(NEXT) | instid1(VALU_DEP_1)
	v_div_scale_f32 v35, null, v33, v33, 1.0
	v_rcp_f32_e32 v38, v35
	s_waitcnt_depctr 0xfff
	v_fma_f32 v24, -v35, v38, 1.0
	s_delay_alu instid0(VALU_DEP_1) | instskip(SKIP_3) | instid1(VALU_DEP_1)
	v_fmac_f32_e32 v38, v24, v38
	v_div_scale_f32 v41, s1, 1.0, v33, 1.0
	v_or_b32_e32 v24, 0x1000, v13
	s_mov_b32 vcc_lo, s1
	v_dual_mul_f32 v43, v41, v38 :: v_dual_add_nc_u32 v44, v24, v13
	ds_load_b128 v[23:26], v44
	ds_load_2addr_stride64_b64 v[27:30], v27 offset0:4 offset1:8
	v_fma_f32 v46, -v35, v43, v41
	s_delay_alu instid0(VALU_DEP_1) | instskip(SKIP_3) | instid1(VALU_DEP_3)
	v_fmac_f32_e32 v43, v46, v38
	s_waitcnt lgkmcnt(2)
	v_mul_f32_e32 v46, v12, v22
	v_mul_f32_e64 v12, v12, -v21
	v_fma_f32 v35, -v35, v43, v41
	s_delay_alu instid0(VALU_DEP_3) | instskip(SKIP_1) | instid1(VALU_DEP_3)
	v_fmac_f32_e32 v46, v21, v11
	v_fmac_f32_e32 v45, v17, v5
	v_div_fmas_f32 v35, v35, v38, v43
	s_delay_alu instid0(VALU_DEP_1) | instskip(SKIP_2) | instid1(VALU_DEP_3)
	v_div_fixup_f32 v5, v35, v33, 1.0
	v_fmac_f32_e32 v12, v22, v11
	v_mul_f32_e32 v6, v6, v18
	v_mul_f32_e32 v17, v5, v46
	s_delay_alu instid0(VALU_DEP_3) | instskip(SKIP_1) | instid1(VALU_DEP_4)
	v_mul_f32_e32 v5, v12, v5
	v_mul_f32_e32 v11, v18, v45
	v_mul_f32_e64 v12, v6, -v20
	s_waitcnt lgkmcnt(1)
	v_mul_f32_e64 v21, v6, -v24
	s_waitcnt lgkmcnt(0)
	v_mul_f32_e32 v38, v5, v28
	v_mul_f32_e32 v32, v6, v16
	v_mul_f32_e64 v33, v5, -v10
	v_fmac_f32_e32 v21, v23, v11
	v_mul_f32_e32 v18, v6, v19
	v_mul_f32_e64 v35, v5, -v30
	v_mul_f32_e32 v22, v6, v23
	v_mul_f32_e64 v6, v6, -v15
	v_fmac_f32_e32 v12, v19, v11
	v_mul_f32_e32 v34, v5, v9
	v_mul_f32_e32 v36, v5, v29
	v_mul_f32_e64 v40, v5, -v27
	v_fma_f32 v5, -v15, v11, v32
	v_fma_f32 v6, -v16, v11, v6
	v_dual_fmac_f32 v33, v9, v17 :: v_dual_fmac_f32 v18, v20, v11
	v_dual_fmac_f32 v35, v29, v17 :: v_dual_fmac_f32 v22, v24, v11
	v_sub_f32_e32 v11, v25, v21
	v_dual_sub_f32 v9, v7, v12 :: v_dual_fmac_f32 v34, v10, v17
	v_fmac_f32_e32 v36, v30, v17
	s_delay_alu instid0(VALU_DEP_3) | instskip(NEXT) | instid1(VALU_DEP_3)
	v_dual_sub_f32 v12, v26, v22 :: v_dual_sub_f32 v11, v11, v35
	v_dual_sub_f32 v9, v9, v33 :: v_dual_sub_f32 v8, v8, v18
	v_fma_f32 v7, -v27, v17, v38
	s_delay_alu instid0(VALU_DEP_3) | instskip(NEXT) | instid1(VALU_DEP_3)
	v_sub_f32_e32 v12, v12, v36
	v_sub_f32_e32 v10, v8, v34
	v_fma_f32 v8, -v28, v17, v40
	ds_store_b64 v31, v[9:10] offset:8
	ds_store_b64 v37, v[5:6] offset:8
	;; [unrolled: 1-line block ×4, first 2 shown]
.LBB48_2:
	s_or_b32 exec_lo, exec_lo, s2
	v_lshlrev_b32_e32 v15, 4, v0
	s_waitcnt lgkmcnt(0)
	s_barrier
	buffer_gl0_inv
	s_and_saveexec_b32 s1, s0
	s_cbranch_execz .LBB48_4
; %bb.3:
	v_add_nc_u32_e32 v9, 8, v15
	ds_load_2addr_b64 v[5:8], v15 offset0:1 offset1:129
	ds_load_2addr_stride64_b64 v[9:12], v9 offset0:4 offset1:8
	s_waitcnt lgkmcnt(1)
	ds_store_2addr_stride64_b64 v13, v[5:6], v[7:8] offset0:10 offset1:11
	s_waitcnt lgkmcnt(1)
	ds_store_2addr_stride64_b64 v13, v[9:10], v[11:12] offset0:12 offset1:14
.LBB48_4:
	s_or_b32 exec_lo, exec_lo, s1
	v_or_b32_e32 v17, 0x1400, v13
	v_or_b32_e32 v18, 0x1800, v13
	;; [unrolled: 1-line block ×4, first 2 shown]
	s_waitcnt lgkmcnt(0)
	s_barrier
	buffer_gl0_inv
                                        ; implicit-def: $vgpr11
                                        ; implicit-def: $vgpr7
                                        ; implicit-def: $vgpr9
                                        ; implicit-def: $vgpr5
	s_and_saveexec_b32 s2, s0
	s_cbranch_execz .LBB48_6
; %bb.5:
	v_max_u32_e32 v5, 1, v0
	v_min_u32_e32 v6, 62, v0
	s_delay_alu instid0(VALU_DEP_2) | instskip(NEXT) | instid1(VALU_DEP_2)
	v_lshlrev_b32_e32 v5, 3, v5
	v_lshlrev_b32_e32 v6, 3, v6
	s_delay_alu instid0(VALU_DEP_2) | instskip(NEXT) | instid1(VALU_DEP_2)
	v_add_nc_u32_e32 v20, 0x1f8, v5
	v_add_nc_u32_e32 v24, 8, v6
	ds_load_2addr_stride64_b64 v[5:8], v20 offset0:9 offset1:10
	ds_load_2addr_stride64_b64 v[9:12], v24 offset0:10 offset1:11
	ds_load_b64 v[28:29], v17
	ds_load_b64 v[30:31], v18
	;; [unrolled: 1-line block ×4, first 2 shown]
	s_waitcnt lgkmcnt(5)
	v_mul_f32_e32 v36, v8, v8
	s_waitcnt lgkmcnt(4)
	s_delay_alu instid0(VALU_DEP_1) | instskip(NEXT) | instid1(VALU_DEP_1)
	v_dual_mul_f32 v37, v12, v12 :: v_dual_fmac_f32 v36, v7, v7
	v_fmac_f32_e32 v37, v11, v11
	s_delay_alu instid0(VALU_DEP_2) | instskip(NEXT) | instid1(VALU_DEP_2)
	v_div_scale_f32 v38, null, v36, v36, 1.0
	v_div_scale_f32 v39, null, v37, v37, 1.0
	v_div_scale_f32 v43, s1, 1.0, v37, 1.0
	s_delay_alu instid0(VALU_DEP_3) | instskip(NEXT) | instid1(VALU_DEP_2)
	v_rcp_f32_e32 v40, v38
	v_rcp_f32_e32 v41, v39
	v_div_scale_f32 v42, vcc_lo, 1.0, v36, 1.0
	s_waitcnt_depctr 0xfff
	v_fma_f32 v21, -v38, v40, 1.0
	v_fma_f32 v22, -v39, v41, 1.0
	s_delay_alu instid0(VALU_DEP_1) | instskip(SKIP_3) | instid1(VALU_DEP_1)
	v_dual_fmac_f32 v41, v22, v41 :: v_dual_fmac_f32 v40, v21, v40
	ds_load_2addr_stride64_b64 v[20:23], v20 offset0:11 offset1:13
	ds_load_2addr_stride64_b64 v[24:27], v24 offset0:12 offset1:14
	v_mul_f32_e32 v45, v43, v41
	v_fma_f32 v47, -v39, v45, v43
	s_delay_alu instid0(VALU_DEP_1) | instskip(NEXT) | instid1(VALU_DEP_1)
	v_dual_mul_f32 v44, v42, v40 :: v_dual_fmac_f32 v45, v47, v41
	v_fma_f32 v46, -v38, v44, v42
	s_waitcnt lgkmcnt(4)
	v_mul_f32_e32 v47, v12, v31
	v_mul_f32_e64 v12, v12, -v30
	v_fma_f32 v39, -v39, v45, v43
	v_fmac_f32_e32 v44, v46, v40
	s_delay_alu instid0(VALU_DEP_4) | instskip(SKIP_2) | instid1(VALU_DEP_4)
	v_dual_mul_f32 v46, v8, v29 :: v_dual_fmac_f32 v47, v30, v11
	v_mul_f32_e64 v8, v8, -v28
	v_fmac_f32_e32 v12, v31, v11
	v_fma_f32 v38, -v38, v44, v42
	s_delay_alu instid0(VALU_DEP_4) | instskip(NEXT) | instid1(VALU_DEP_4)
	v_fmac_f32_e32 v46, v28, v7
	v_fmac_f32_e32 v8, v29, v7
	s_delay_alu instid0(VALU_DEP_3) | instskip(SKIP_2) | instid1(VALU_DEP_2)
	v_div_fmas_f32 v38, v38, v40, v44
	s_mov_b32 vcc_lo, s1
	v_div_fmas_f32 v39, v39, v41, v45
	v_div_fixup_f32 v29, v38, v36, 1.0
	s_delay_alu instid0(VALU_DEP_2) | instskip(NEXT) | instid1(VALU_DEP_1)
	v_div_fixup_f32 v7, v39, v37, 1.0
	v_mul_f32_e32 v28, v7, v47
	v_mul_f32_e32 v7, v12, v7
	s_delay_alu instid0(VALU_DEP_1) | instskip(SKIP_2) | instid1(VALU_DEP_2)
	v_mul_f32_e64 v37, v7, -v10
	s_waitcnt lgkmcnt(0)
	v_mul_f32_e32 v41, v7, v25
	v_fmac_f32_e32 v37, v9, v28
	v_dual_mul_f32 v11, v29, v46 :: v_dual_mul_f32 v8, v8, v29
	s_delay_alu instid0(VALU_DEP_1) | instskip(NEXT) | instid1(VALU_DEP_1)
	v_mul_f32_e32 v29, v8, v20
	v_fmac_f32_e32 v29, v21, v11
	v_mul_f32_e64 v30, v8, -v23
	v_dual_mul_f32 v31, v8, v22 :: v_dual_mul_f32 v38, v7, v9
	v_mul_f32_e64 v12, v8, -v21
	v_mul_f32_e32 v36, v8, v6
	v_mul_f32_e64 v8, v8, -v5
	s_delay_alu instid0(VALU_DEP_4)
	v_fmac_f32_e32 v31, v23, v11
	v_fmac_f32_e32 v30, v22, v11
	;; [unrolled: 1-line block ×3, first 2 shown]
	v_mul_f32_e64 v39, v7, -v27
	v_fmac_f32_e32 v12, v20, v11
	v_fma_f32 v5, -v5, v11, v36
	v_fma_f32 v6, -v6, v11, v8
	v_sub_f32_e32 v11, v34, v30
	v_fmac_f32_e32 v39, v26, v28
	v_sub_f32_e32 v8, v32, v12
	v_mul_f32_e64 v42, v7, -v24
	v_sub_f32_e32 v10, v33, v29
	v_sub_f32_e32 v12, v35, v31
	;; [unrolled: 1-line block ×3, first 2 shown]
	v_dual_mul_f32 v40, v7, v26 :: v_dual_sub_f32 v9, v8, v37
	v_fma_f32 v7, -v24, v28, v41
	v_sub_f32_e32 v10, v10, v38
	v_fma_f32 v8, -v25, v28, v42
	s_delay_alu instid0(VALU_DEP_4) | instskip(NEXT) | instid1(VALU_DEP_1)
	v_fmac_f32_e32 v40, v27, v28
	v_sub_f32_e32 v12, v12, v40
.LBB48_6:
	s_or_b32 exec_lo, exec_lo, s2
	s_barrier
	buffer_gl0_inv
	s_and_saveexec_b32 s1, s0
	s_cbranch_execz .LBB48_8
; %bb.7:
	ds_store_b64 v16, v[11:12]
	ds_store_b64 v17, v[5:6]
	;; [unrolled: 1-line block ×4, first 2 shown]
.LBB48_8:
	s_or_b32 exec_lo, exec_lo, s1
	s_waitcnt lgkmcnt(0)
	s_barrier
	buffer_gl0_inv
	s_and_saveexec_b32 s2, s0
	s_cbranch_execz .LBB48_10
; %bb.9:
	v_max_u32_e32 v5, 2, v0
	v_min_u32_e32 v6, 61, v0
	s_delay_alu instid0(VALU_DEP_2) | instskip(NEXT) | instid1(VALU_DEP_2)
	v_lshlrev_b32_e32 v5, 3, v5
	v_lshlrev_b32_e32 v6, 3, v6
	s_delay_alu instid0(VALU_DEP_2) | instskip(NEXT) | instid1(VALU_DEP_2)
	v_add_nc_u32_e32 v20, 0x1f0, v5
	v_add_nc_u32_e32 v24, 16, v6
	ds_load_2addr_stride64_b64 v[5:8], v20 offset0:9 offset1:10
	ds_load_2addr_stride64_b64 v[9:12], v24 offset0:10 offset1:11
	ds_load_b64 v[28:29], v17
	ds_load_b64 v[30:31], v18
	;; [unrolled: 1-line block ×4, first 2 shown]
	s_waitcnt lgkmcnt(5)
	v_mul_f32_e32 v36, v8, v8
	s_waitcnt lgkmcnt(4)
	s_delay_alu instid0(VALU_DEP_1) | instskip(NEXT) | instid1(VALU_DEP_1)
	v_dual_mul_f32 v37, v12, v12 :: v_dual_fmac_f32 v36, v7, v7
	v_fmac_f32_e32 v37, v11, v11
	s_delay_alu instid0(VALU_DEP_2) | instskip(NEXT) | instid1(VALU_DEP_2)
	v_div_scale_f32 v38, null, v36, v36, 1.0
	v_div_scale_f32 v39, null, v37, v37, 1.0
	v_div_scale_f32 v43, s1, 1.0, v37, 1.0
	s_delay_alu instid0(VALU_DEP_3) | instskip(NEXT) | instid1(VALU_DEP_2)
	v_rcp_f32_e32 v40, v38
	v_rcp_f32_e32 v41, v39
	v_div_scale_f32 v42, vcc_lo, 1.0, v36, 1.0
	s_waitcnt_depctr 0xfff
	v_fma_f32 v21, -v38, v40, 1.0
	v_fma_f32 v22, -v39, v41, 1.0
	s_delay_alu instid0(VALU_DEP_1) | instskip(SKIP_3) | instid1(VALU_DEP_1)
	v_dual_fmac_f32 v41, v22, v41 :: v_dual_fmac_f32 v40, v21, v40
	ds_load_2addr_stride64_b64 v[20:23], v20 offset0:11 offset1:13
	ds_load_2addr_stride64_b64 v[24:27], v24 offset0:12 offset1:14
	v_mul_f32_e32 v45, v43, v41
	v_fma_f32 v47, -v39, v45, v43
	s_delay_alu instid0(VALU_DEP_1) | instskip(NEXT) | instid1(VALU_DEP_1)
	v_dual_mul_f32 v44, v42, v40 :: v_dual_fmac_f32 v45, v47, v41
	v_fma_f32 v46, -v38, v44, v42
	s_waitcnt lgkmcnt(4)
	v_mul_f32_e32 v47, v12, v31
	v_mul_f32_e64 v12, v12, -v30
	v_fma_f32 v39, -v39, v45, v43
	v_fmac_f32_e32 v44, v46, v40
	s_delay_alu instid0(VALU_DEP_4) | instskip(SKIP_2) | instid1(VALU_DEP_4)
	v_dual_mul_f32 v46, v8, v29 :: v_dual_fmac_f32 v47, v30, v11
	v_mul_f32_e64 v8, v8, -v28
	v_fmac_f32_e32 v12, v31, v11
	v_fma_f32 v38, -v38, v44, v42
	s_delay_alu instid0(VALU_DEP_4) | instskip(NEXT) | instid1(VALU_DEP_4)
	v_fmac_f32_e32 v46, v28, v7
	v_fmac_f32_e32 v8, v29, v7
	s_delay_alu instid0(VALU_DEP_3) | instskip(SKIP_2) | instid1(VALU_DEP_2)
	v_div_fmas_f32 v38, v38, v40, v44
	s_mov_b32 vcc_lo, s1
	v_div_fmas_f32 v39, v39, v41, v45
	v_div_fixup_f32 v29, v38, v36, 1.0
	s_delay_alu instid0(VALU_DEP_2) | instskip(NEXT) | instid1(VALU_DEP_1)
	v_div_fixup_f32 v7, v39, v37, 1.0
	v_mul_f32_e32 v28, v7, v47
	v_mul_f32_e32 v7, v12, v7
	s_delay_alu instid0(VALU_DEP_1) | instskip(SKIP_2) | instid1(VALU_DEP_2)
	v_mul_f32_e64 v37, v7, -v10
	s_waitcnt lgkmcnt(0)
	v_mul_f32_e32 v41, v7, v25
	v_fmac_f32_e32 v37, v9, v28
	v_dual_mul_f32 v11, v29, v46 :: v_dual_mul_f32 v8, v8, v29
	s_delay_alu instid0(VALU_DEP_1) | instskip(NEXT) | instid1(VALU_DEP_1)
	v_mul_f32_e32 v29, v8, v20
	v_fmac_f32_e32 v29, v21, v11
	v_mul_f32_e64 v30, v8, -v23
	v_dual_mul_f32 v31, v8, v22 :: v_dual_mul_f32 v38, v7, v9
	v_mul_f32_e64 v12, v8, -v21
	v_mul_f32_e32 v36, v8, v6
	v_mul_f32_e64 v8, v8, -v5
	s_delay_alu instid0(VALU_DEP_4)
	v_fmac_f32_e32 v31, v23, v11
	v_fmac_f32_e32 v30, v22, v11
	;; [unrolled: 1-line block ×3, first 2 shown]
	v_mul_f32_e64 v39, v7, -v27
	v_fmac_f32_e32 v12, v20, v11
	v_fma_f32 v5, -v5, v11, v36
	v_fma_f32 v6, -v6, v11, v8
	v_sub_f32_e32 v11, v34, v30
	v_fmac_f32_e32 v39, v26, v28
	v_sub_f32_e32 v8, v32, v12
	v_mul_f32_e64 v42, v7, -v24
	v_sub_f32_e32 v10, v33, v29
	v_sub_f32_e32 v12, v35, v31
	v_sub_f32_e32 v11, v11, v39
	v_dual_mul_f32 v40, v7, v26 :: v_dual_sub_f32 v9, v8, v37
	v_fma_f32 v7, -v24, v28, v41
	v_sub_f32_e32 v10, v10, v38
	v_fma_f32 v8, -v25, v28, v42
	s_delay_alu instid0(VALU_DEP_4) | instskip(NEXT) | instid1(VALU_DEP_1)
	v_fmac_f32_e32 v40, v27, v28
	v_sub_f32_e32 v12, v12, v40
.LBB48_10:
	s_or_b32 exec_lo, exec_lo, s2
	s_barrier
	buffer_gl0_inv
	s_and_saveexec_b32 s1, s0
	s_cbranch_execz .LBB48_12
; %bb.11:
	ds_store_b64 v16, v[11:12]
	ds_store_b64 v17, v[5:6]
	;; [unrolled: 1-line block ×4, first 2 shown]
.LBB48_12:
	s_or_b32 exec_lo, exec_lo, s1
	s_waitcnt lgkmcnt(0)
	s_barrier
	buffer_gl0_inv
	s_and_saveexec_b32 s2, s0
	s_cbranch_execz .LBB48_14
; %bb.13:
	v_max_u32_e32 v5, 4, v0
	v_min_u32_e32 v6, 59, v0
	s_delay_alu instid0(VALU_DEP_2) | instskip(NEXT) | instid1(VALU_DEP_2)
	v_lshlrev_b32_e32 v5, 3, v5
	v_lshlrev_b32_e32 v6, 3, v6
	s_delay_alu instid0(VALU_DEP_2) | instskip(NEXT) | instid1(VALU_DEP_2)
	v_add_nc_u32_e32 v20, 0x1e0, v5
	v_add_nc_u32_e32 v24, 32, v6
	ds_load_2addr_stride64_b64 v[5:8], v20 offset0:9 offset1:10
	ds_load_2addr_stride64_b64 v[9:12], v24 offset0:10 offset1:11
	ds_load_b64 v[28:29], v17
	ds_load_b64 v[30:31], v18
	;; [unrolled: 1-line block ×4, first 2 shown]
	s_waitcnt lgkmcnt(5)
	v_mul_f32_e32 v36, v8, v8
	s_waitcnt lgkmcnt(4)
	s_delay_alu instid0(VALU_DEP_1) | instskip(NEXT) | instid1(VALU_DEP_1)
	v_dual_mul_f32 v37, v12, v12 :: v_dual_fmac_f32 v36, v7, v7
	v_fmac_f32_e32 v37, v11, v11
	s_delay_alu instid0(VALU_DEP_2) | instskip(NEXT) | instid1(VALU_DEP_2)
	v_div_scale_f32 v38, null, v36, v36, 1.0
	v_div_scale_f32 v39, null, v37, v37, 1.0
	v_div_scale_f32 v43, s1, 1.0, v37, 1.0
	s_delay_alu instid0(VALU_DEP_3) | instskip(NEXT) | instid1(VALU_DEP_2)
	v_rcp_f32_e32 v40, v38
	v_rcp_f32_e32 v41, v39
	v_div_scale_f32 v42, vcc_lo, 1.0, v36, 1.0
	s_waitcnt_depctr 0xfff
	v_fma_f32 v21, -v38, v40, 1.0
	v_fma_f32 v22, -v39, v41, 1.0
	s_delay_alu instid0(VALU_DEP_1) | instskip(SKIP_3) | instid1(VALU_DEP_1)
	v_dual_fmac_f32 v41, v22, v41 :: v_dual_fmac_f32 v40, v21, v40
	ds_load_2addr_stride64_b64 v[20:23], v20 offset0:11 offset1:13
	ds_load_2addr_stride64_b64 v[24:27], v24 offset0:12 offset1:14
	v_mul_f32_e32 v45, v43, v41
	v_fma_f32 v47, -v39, v45, v43
	s_delay_alu instid0(VALU_DEP_1) | instskip(NEXT) | instid1(VALU_DEP_1)
	v_dual_mul_f32 v44, v42, v40 :: v_dual_fmac_f32 v45, v47, v41
	v_fma_f32 v46, -v38, v44, v42
	s_waitcnt lgkmcnt(4)
	v_mul_f32_e32 v47, v12, v31
	v_mul_f32_e64 v12, v12, -v30
	v_fma_f32 v39, -v39, v45, v43
	v_fmac_f32_e32 v44, v46, v40
	s_delay_alu instid0(VALU_DEP_4) | instskip(SKIP_2) | instid1(VALU_DEP_4)
	v_dual_mul_f32 v46, v8, v29 :: v_dual_fmac_f32 v47, v30, v11
	v_mul_f32_e64 v8, v8, -v28
	v_fmac_f32_e32 v12, v31, v11
	v_fma_f32 v38, -v38, v44, v42
	s_delay_alu instid0(VALU_DEP_4) | instskip(NEXT) | instid1(VALU_DEP_4)
	v_fmac_f32_e32 v46, v28, v7
	v_fmac_f32_e32 v8, v29, v7
	s_delay_alu instid0(VALU_DEP_3) | instskip(SKIP_2) | instid1(VALU_DEP_2)
	v_div_fmas_f32 v38, v38, v40, v44
	s_mov_b32 vcc_lo, s1
	v_div_fmas_f32 v39, v39, v41, v45
	v_div_fixup_f32 v29, v38, v36, 1.0
	s_delay_alu instid0(VALU_DEP_2) | instskip(NEXT) | instid1(VALU_DEP_1)
	v_div_fixup_f32 v7, v39, v37, 1.0
	v_mul_f32_e32 v28, v7, v47
	v_mul_f32_e32 v7, v12, v7
	s_delay_alu instid0(VALU_DEP_1) | instskip(SKIP_2) | instid1(VALU_DEP_2)
	v_mul_f32_e64 v37, v7, -v10
	s_waitcnt lgkmcnt(0)
	v_mul_f32_e32 v41, v7, v25
	v_fmac_f32_e32 v37, v9, v28
	v_dual_mul_f32 v11, v29, v46 :: v_dual_mul_f32 v8, v8, v29
	s_delay_alu instid0(VALU_DEP_1) | instskip(NEXT) | instid1(VALU_DEP_1)
	v_mul_f32_e32 v29, v8, v20
	v_fmac_f32_e32 v29, v21, v11
	v_mul_f32_e64 v30, v8, -v23
	v_dual_mul_f32 v31, v8, v22 :: v_dual_mul_f32 v38, v7, v9
	v_mul_f32_e64 v12, v8, -v21
	v_mul_f32_e32 v36, v8, v6
	v_mul_f32_e64 v8, v8, -v5
	s_delay_alu instid0(VALU_DEP_4)
	v_fmac_f32_e32 v31, v23, v11
	v_fmac_f32_e32 v30, v22, v11
	;; [unrolled: 1-line block ×3, first 2 shown]
	v_mul_f32_e64 v39, v7, -v27
	v_fmac_f32_e32 v12, v20, v11
	v_fma_f32 v5, -v5, v11, v36
	v_fma_f32 v6, -v6, v11, v8
	v_sub_f32_e32 v11, v34, v30
	v_fmac_f32_e32 v39, v26, v28
	v_sub_f32_e32 v8, v32, v12
	v_mul_f32_e64 v42, v7, -v24
	v_sub_f32_e32 v10, v33, v29
	v_sub_f32_e32 v12, v35, v31
	;; [unrolled: 1-line block ×3, first 2 shown]
	v_dual_mul_f32 v40, v7, v26 :: v_dual_sub_f32 v9, v8, v37
	v_fma_f32 v7, -v24, v28, v41
	v_sub_f32_e32 v10, v10, v38
	v_fma_f32 v8, -v25, v28, v42
	s_delay_alu instid0(VALU_DEP_4) | instskip(NEXT) | instid1(VALU_DEP_1)
	v_fmac_f32_e32 v40, v27, v28
	v_sub_f32_e32 v12, v12, v40
.LBB48_14:
	s_or_b32 exec_lo, exec_lo, s2
	s_barrier
	buffer_gl0_inv
	s_and_saveexec_b32 s1, s0
	s_cbranch_execz .LBB48_16
; %bb.15:
	ds_store_b64 v16, v[11:12]
	ds_store_b64 v17, v[5:6]
	;; [unrolled: 1-line block ×4, first 2 shown]
.LBB48_16:
	s_or_b32 exec_lo, exec_lo, s1
	s_waitcnt lgkmcnt(0)
	s_barrier
	buffer_gl0_inv
	s_and_saveexec_b32 s2, s0
	s_cbranch_execz .LBB48_18
; %bb.17:
	v_max_u32_e32 v5, 8, v0
	v_min_u32_e32 v6, 55, v0
	s_delay_alu instid0(VALU_DEP_2) | instskip(NEXT) | instid1(VALU_DEP_2)
	v_lshlrev_b32_e32 v5, 3, v5
	v_lshlrev_b32_e32 v6, 3, v6
	s_delay_alu instid0(VALU_DEP_2) | instskip(NEXT) | instid1(VALU_DEP_2)
	v_add_nc_u32_e32 v20, 0x1c0, v5
	v_add_nc_u32_e32 v24, 64, v6
	ds_load_2addr_stride64_b64 v[5:8], v20 offset0:9 offset1:10
	ds_load_2addr_stride64_b64 v[9:12], v24 offset0:10 offset1:11
	ds_load_b64 v[28:29], v17
	ds_load_b64 v[30:31], v18
	;; [unrolled: 1-line block ×4, first 2 shown]
	s_waitcnt lgkmcnt(5)
	v_mul_f32_e32 v36, v8, v8
	s_waitcnt lgkmcnt(4)
	s_delay_alu instid0(VALU_DEP_1) | instskip(NEXT) | instid1(VALU_DEP_1)
	v_dual_mul_f32 v37, v12, v12 :: v_dual_fmac_f32 v36, v7, v7
	v_fmac_f32_e32 v37, v11, v11
	s_delay_alu instid0(VALU_DEP_2) | instskip(NEXT) | instid1(VALU_DEP_2)
	v_div_scale_f32 v38, null, v36, v36, 1.0
	v_div_scale_f32 v39, null, v37, v37, 1.0
	v_div_scale_f32 v43, s1, 1.0, v37, 1.0
	s_delay_alu instid0(VALU_DEP_3) | instskip(NEXT) | instid1(VALU_DEP_2)
	v_rcp_f32_e32 v40, v38
	v_rcp_f32_e32 v41, v39
	v_div_scale_f32 v42, vcc_lo, 1.0, v36, 1.0
	s_waitcnt_depctr 0xfff
	v_fma_f32 v21, -v38, v40, 1.0
	v_fma_f32 v22, -v39, v41, 1.0
	s_delay_alu instid0(VALU_DEP_1) | instskip(SKIP_3) | instid1(VALU_DEP_1)
	v_dual_fmac_f32 v41, v22, v41 :: v_dual_fmac_f32 v40, v21, v40
	ds_load_2addr_stride64_b64 v[20:23], v20 offset0:11 offset1:13
	ds_load_2addr_stride64_b64 v[24:27], v24 offset0:12 offset1:14
	v_mul_f32_e32 v45, v43, v41
	v_fma_f32 v47, -v39, v45, v43
	s_delay_alu instid0(VALU_DEP_1) | instskip(NEXT) | instid1(VALU_DEP_1)
	v_dual_mul_f32 v44, v42, v40 :: v_dual_fmac_f32 v45, v47, v41
	v_fma_f32 v46, -v38, v44, v42
	s_waitcnt lgkmcnt(4)
	v_mul_f32_e32 v47, v12, v31
	v_mul_f32_e64 v12, v12, -v30
	v_fma_f32 v39, -v39, v45, v43
	v_fmac_f32_e32 v44, v46, v40
	s_delay_alu instid0(VALU_DEP_4) | instskip(SKIP_2) | instid1(VALU_DEP_4)
	v_dual_mul_f32 v46, v8, v29 :: v_dual_fmac_f32 v47, v30, v11
	v_mul_f32_e64 v8, v8, -v28
	v_fmac_f32_e32 v12, v31, v11
	v_fma_f32 v38, -v38, v44, v42
	s_delay_alu instid0(VALU_DEP_4) | instskip(NEXT) | instid1(VALU_DEP_4)
	v_fmac_f32_e32 v46, v28, v7
	v_fmac_f32_e32 v8, v29, v7
	s_delay_alu instid0(VALU_DEP_3) | instskip(SKIP_2) | instid1(VALU_DEP_2)
	v_div_fmas_f32 v38, v38, v40, v44
	s_mov_b32 vcc_lo, s1
	v_div_fmas_f32 v39, v39, v41, v45
	v_div_fixup_f32 v29, v38, v36, 1.0
	s_delay_alu instid0(VALU_DEP_2) | instskip(NEXT) | instid1(VALU_DEP_1)
	v_div_fixup_f32 v7, v39, v37, 1.0
	v_mul_f32_e32 v28, v7, v47
	v_mul_f32_e32 v7, v12, v7
	s_delay_alu instid0(VALU_DEP_1) | instskip(SKIP_2) | instid1(VALU_DEP_2)
	v_mul_f32_e64 v37, v7, -v10
	s_waitcnt lgkmcnt(0)
	v_mul_f32_e32 v41, v7, v25
	v_fmac_f32_e32 v37, v9, v28
	v_dual_mul_f32 v11, v29, v46 :: v_dual_mul_f32 v8, v8, v29
	s_delay_alu instid0(VALU_DEP_1) | instskip(NEXT) | instid1(VALU_DEP_1)
	v_mul_f32_e32 v29, v8, v20
	v_fmac_f32_e32 v29, v21, v11
	v_mul_f32_e64 v30, v8, -v23
	v_dual_mul_f32 v31, v8, v22 :: v_dual_mul_f32 v38, v7, v9
	v_mul_f32_e64 v12, v8, -v21
	v_mul_f32_e32 v36, v8, v6
	v_mul_f32_e64 v8, v8, -v5
	s_delay_alu instid0(VALU_DEP_4)
	v_fmac_f32_e32 v31, v23, v11
	v_fmac_f32_e32 v30, v22, v11
	;; [unrolled: 1-line block ×3, first 2 shown]
	v_mul_f32_e64 v39, v7, -v27
	v_fmac_f32_e32 v12, v20, v11
	v_fma_f32 v5, -v5, v11, v36
	v_fma_f32 v6, -v6, v11, v8
	v_sub_f32_e32 v11, v34, v30
	v_fmac_f32_e32 v39, v26, v28
	v_sub_f32_e32 v8, v32, v12
	v_mul_f32_e64 v42, v7, -v24
	v_sub_f32_e32 v10, v33, v29
	v_sub_f32_e32 v12, v35, v31
	v_sub_f32_e32 v11, v11, v39
	v_dual_mul_f32 v40, v7, v26 :: v_dual_sub_f32 v9, v8, v37
	v_fma_f32 v7, -v24, v28, v41
	v_sub_f32_e32 v10, v10, v38
	v_fma_f32 v8, -v25, v28, v42
	s_delay_alu instid0(VALU_DEP_4) | instskip(NEXT) | instid1(VALU_DEP_1)
	v_fmac_f32_e32 v40, v27, v28
	v_sub_f32_e32 v12, v12, v40
.LBB48_18:
	s_or_b32 exec_lo, exec_lo, s2
	s_barrier
	buffer_gl0_inv
	s_and_saveexec_b32 s1, s0
	s_cbranch_execz .LBB48_20
; %bb.19:
	ds_store_b64 v16, v[11:12]
	ds_store_b64 v17, v[5:6]
	;; [unrolled: 1-line block ×4, first 2 shown]
.LBB48_20:
	s_or_b32 exec_lo, exec_lo, s1
	s_waitcnt lgkmcnt(0)
	s_barrier
	buffer_gl0_inv
	s_and_saveexec_b32 s2, s0
	s_cbranch_execz .LBB48_22
; %bb.21:
	v_max_u32_e32 v5, 16, v0
	v_min_u32_e32 v6, 47, v0
	s_delay_alu instid0(VALU_DEP_2) | instskip(NEXT) | instid1(VALU_DEP_2)
	v_lshlrev_b32_e32 v5, 3, v5
	v_lshlrev_b32_e32 v6, 3, v6
	s_delay_alu instid0(VALU_DEP_2) | instskip(NEXT) | instid1(VALU_DEP_2)
	v_add_nc_u32_e32 v20, 0x180, v5
	v_add_nc_u32_e32 v24, 0x80, v6
	ds_load_2addr_stride64_b64 v[5:8], v20 offset0:9 offset1:10
	ds_load_2addr_stride64_b64 v[9:12], v24 offset0:10 offset1:11
	ds_load_b64 v[28:29], v17
	ds_load_b64 v[30:31], v18
	;; [unrolled: 1-line block ×4, first 2 shown]
	s_waitcnt lgkmcnt(5)
	v_mul_f32_e32 v36, v8, v8
	s_waitcnt lgkmcnt(4)
	s_delay_alu instid0(VALU_DEP_1) | instskip(NEXT) | instid1(VALU_DEP_1)
	v_dual_mul_f32 v37, v12, v12 :: v_dual_fmac_f32 v36, v7, v7
	v_fmac_f32_e32 v37, v11, v11
	s_delay_alu instid0(VALU_DEP_2) | instskip(NEXT) | instid1(VALU_DEP_2)
	v_div_scale_f32 v38, null, v36, v36, 1.0
	v_div_scale_f32 v39, null, v37, v37, 1.0
	v_div_scale_f32 v43, s1, 1.0, v37, 1.0
	s_delay_alu instid0(VALU_DEP_3) | instskip(NEXT) | instid1(VALU_DEP_2)
	v_rcp_f32_e32 v40, v38
	v_rcp_f32_e32 v41, v39
	v_div_scale_f32 v42, vcc_lo, 1.0, v36, 1.0
	s_waitcnt_depctr 0xfff
	v_fma_f32 v21, -v38, v40, 1.0
	v_fma_f32 v22, -v39, v41, 1.0
	s_delay_alu instid0(VALU_DEP_1) | instskip(SKIP_3) | instid1(VALU_DEP_1)
	v_dual_fmac_f32 v41, v22, v41 :: v_dual_fmac_f32 v40, v21, v40
	ds_load_2addr_stride64_b64 v[20:23], v20 offset0:11 offset1:13
	ds_load_2addr_stride64_b64 v[24:27], v24 offset0:12 offset1:14
	v_mul_f32_e32 v45, v43, v41
	v_fma_f32 v47, -v39, v45, v43
	s_delay_alu instid0(VALU_DEP_1) | instskip(NEXT) | instid1(VALU_DEP_1)
	v_dual_mul_f32 v44, v42, v40 :: v_dual_fmac_f32 v45, v47, v41
	v_fma_f32 v46, -v38, v44, v42
	s_waitcnt lgkmcnt(4)
	v_mul_f32_e32 v47, v12, v31
	v_mul_f32_e64 v12, v12, -v30
	v_fma_f32 v39, -v39, v45, v43
	v_fmac_f32_e32 v44, v46, v40
	s_delay_alu instid0(VALU_DEP_4) | instskip(SKIP_2) | instid1(VALU_DEP_4)
	v_dual_mul_f32 v46, v8, v29 :: v_dual_fmac_f32 v47, v30, v11
	v_mul_f32_e64 v8, v8, -v28
	v_fmac_f32_e32 v12, v31, v11
	v_fma_f32 v38, -v38, v44, v42
	s_delay_alu instid0(VALU_DEP_4) | instskip(NEXT) | instid1(VALU_DEP_4)
	v_fmac_f32_e32 v46, v28, v7
	v_fmac_f32_e32 v8, v29, v7
	s_delay_alu instid0(VALU_DEP_3) | instskip(SKIP_2) | instid1(VALU_DEP_2)
	v_div_fmas_f32 v38, v38, v40, v44
	s_mov_b32 vcc_lo, s1
	v_div_fmas_f32 v39, v39, v41, v45
	v_div_fixup_f32 v29, v38, v36, 1.0
	s_delay_alu instid0(VALU_DEP_2) | instskip(NEXT) | instid1(VALU_DEP_1)
	v_div_fixup_f32 v7, v39, v37, 1.0
	v_mul_f32_e32 v28, v7, v47
	v_mul_f32_e32 v7, v12, v7
	s_delay_alu instid0(VALU_DEP_1) | instskip(SKIP_2) | instid1(VALU_DEP_2)
	v_mul_f32_e64 v37, v7, -v10
	s_waitcnt lgkmcnt(0)
	v_mul_f32_e32 v41, v7, v25
	v_fmac_f32_e32 v37, v9, v28
	v_dual_mul_f32 v11, v29, v46 :: v_dual_mul_f32 v8, v8, v29
	s_delay_alu instid0(VALU_DEP_1) | instskip(NEXT) | instid1(VALU_DEP_1)
	v_mul_f32_e32 v29, v8, v20
	v_fmac_f32_e32 v29, v21, v11
	v_mul_f32_e64 v30, v8, -v23
	v_dual_mul_f32 v31, v8, v22 :: v_dual_mul_f32 v38, v7, v9
	v_mul_f32_e64 v12, v8, -v21
	v_mul_f32_e32 v36, v8, v6
	v_mul_f32_e64 v8, v8, -v5
	s_delay_alu instid0(VALU_DEP_4)
	v_fmac_f32_e32 v31, v23, v11
	v_fmac_f32_e32 v30, v22, v11
	;; [unrolled: 1-line block ×3, first 2 shown]
	v_mul_f32_e64 v39, v7, -v27
	v_fmac_f32_e32 v12, v20, v11
	v_fma_f32 v5, -v5, v11, v36
	v_fma_f32 v6, -v6, v11, v8
	v_sub_f32_e32 v11, v34, v30
	v_fmac_f32_e32 v39, v26, v28
	v_sub_f32_e32 v8, v32, v12
	v_mul_f32_e64 v42, v7, -v24
	v_sub_f32_e32 v10, v33, v29
	v_sub_f32_e32 v12, v35, v31
	;; [unrolled: 1-line block ×3, first 2 shown]
	v_dual_mul_f32 v40, v7, v26 :: v_dual_sub_f32 v9, v8, v37
	v_fma_f32 v7, -v24, v28, v41
	v_sub_f32_e32 v10, v10, v38
	v_fma_f32 v8, -v25, v28, v42
	s_delay_alu instid0(VALU_DEP_4) | instskip(NEXT) | instid1(VALU_DEP_1)
	v_fmac_f32_e32 v40, v27, v28
	v_sub_f32_e32 v12, v12, v40
.LBB48_22:
	s_or_b32 exec_lo, exec_lo, s2
	s_barrier
	buffer_gl0_inv
	s_and_saveexec_b32 s1, s0
	s_cbranch_execz .LBB48_24
; %bb.23:
	ds_store_b64 v16, v[11:12]
	ds_store_b64 v17, v[5:6]
	;; [unrolled: 1-line block ×4, first 2 shown]
.LBB48_24:
	s_or_b32 exec_lo, exec_lo, s1
	s_delay_alu instid0(SALU_CYCLE_1)
	s_mov_b32 s1, exec_lo
	s_waitcnt lgkmcnt(0)
	s_barrier
	buffer_gl0_inv
	v_cmpx_gt_u32_e32 32, v0
	s_cbranch_execz .LBB48_26
; %bb.25:
	ds_load_2addr_b64 v[5:8], v19 offset1:32
	ds_load_b64 v[18:19], v18
	ds_load_b64 v[20:21], v17 offset:256
	s_waitcnt lgkmcnt(2)
	v_mul_f32_e32 v9, v6, v7
	v_mul_f32_e64 v11, v6, -v8
	s_waitcnt lgkmcnt(0)
	v_mul_f32_e32 v10, v21, v18
	v_mul_f32_e64 v12, v21, -v19
	v_fmac_f32_e32 v9, v8, v5
	v_fmac_f32_e32 v11, v7, v5
	s_delay_alu instid0(VALU_DEP_4) | instskip(NEXT) | instid1(VALU_DEP_1)
	v_fmac_f32_e32 v10, v19, v20
	v_dual_fmac_f32 v12, v18, v20 :: v_dual_sub_f32 v17, v9, v10
	s_delay_alu instid0(VALU_DEP_1)
	v_sub_f32_e32 v22, v11, v12
	ds_load_2addr_b64 v[9:12], v16 offset1:32
	v_mul_f32_e32 v23, v17, v17
	s_waitcnt lgkmcnt(0)
	v_mul_f32_e64 v32, v6, -v12
	v_mul_f32_e32 v6, v6, v11
	s_delay_alu instid0(VALU_DEP_3) | instskip(SKIP_3) | instid1(VALU_DEP_4)
	v_fmac_f32_e32 v23, v22, v22
	v_mul_f32_e64 v30, v12, -v19
	v_mul_f32_e64 v27, v10, -v8
	v_dual_mul_f32 v29, v10, v7 :: v_dual_fmac_f32 v32, v11, v5
	v_div_scale_f32 v24, null, v23, v23, 1.0
	v_div_scale_f32 v26, vcc_lo, 1.0, v23, 1.0
	v_fmac_f32_e32 v30, v18, v11
	s_delay_alu instid0(VALU_DEP_3) | instskip(SKIP_3) | instid1(VALU_DEP_3)
	v_rcp_f32_e32 v25, v24
	v_mul_f32_e32 v31, v12, v18
	v_fmac_f32_e32 v6, v12, v5
	v_fma_f32 v5, v22, 0, -v17
	v_fmac_f32_e32 v31, v19, v11
	s_waitcnt_depctr 0xfff
	v_fma_f32 v16, -v24, v25, 1.0
	s_delay_alu instid0(VALU_DEP_1) | instskip(NEXT) | instid1(VALU_DEP_1)
	v_fmac_f32_e32 v25, v16, v25
	v_mul_f32_e32 v16, v26, v25
	s_delay_alu instid0(VALU_DEP_1) | instskip(NEXT) | instid1(VALU_DEP_1)
	v_fma_f32 v28, -v24, v16, v26
	v_fmac_f32_e32 v16, v28, v25
	v_mul_f32_e64 v28, v21, -v10
	v_fmac_f32_e32 v27, v7, v9
	s_delay_alu instid0(VALU_DEP_3) | instskip(NEXT) | instid1(VALU_DEP_3)
	v_fma_f32 v7, -v24, v16, v26
	v_fmac_f32_e32 v28, v9, v20
	v_mul_f32_e32 v21, v21, v9
	s_delay_alu instid0(VALU_DEP_3) | instskip(NEXT) | instid1(VALU_DEP_3)
	v_div_fmas_f32 v7, v7, v25, v16
	v_dual_sub_f32 v16, v32, v28 :: v_dual_sub_f32 v11, v27, v30
	s_delay_alu instid0(VALU_DEP_3) | instskip(NEXT) | instid1(VALU_DEP_3)
	v_fmac_f32_e32 v21, v10, v20
	v_div_fixup_f32 v7, v7, v23, 1.0
	v_fmac_f32_e32 v29, v8, v9
	v_fma_f32 v8, 0, v17, v22
	s_delay_alu instid0(VALU_DEP_4) | instskip(NEXT) | instid1(VALU_DEP_4)
	v_sub_f32_e32 v12, v6, v21
	v_mul_f32_e32 v10, v5, v7
	s_delay_alu instid0(VALU_DEP_4) | instskip(NEXT) | instid1(VALU_DEP_4)
	v_sub_f32_e32 v9, v29, v31
	v_mul_f32_e32 v17, v8, v7
	s_delay_alu instid0(VALU_DEP_3) | instskip(NEXT) | instid1(VALU_DEP_3)
	v_mul_f32_e64 v7, v10, -v12
	v_mul_f32_e64 v5, v10, -v9
	v_mul_f32_e32 v8, v10, v16
	s_delay_alu instid0(VALU_DEP_3) | instskip(NEXT) | instid1(VALU_DEP_3)
	v_dual_mul_f32 v6, v11, v10 :: v_dual_fmac_f32 v7, v16, v17
	v_fmac_f32_e32 v5, v11, v17
	s_delay_alu instid0(VALU_DEP_3) | instskip(NEXT) | instid1(VALU_DEP_3)
	v_fmac_f32_e32 v8, v12, v17
	v_fmac_f32_e32 v6, v9, v17
	v_add_nc_u32_e32 v9, 0x1800, v13
	ds_store_2addr_b64 v9, v[5:6], v[7:8] offset0:64 offset1:96
.LBB48_26:
	s_or_b32 exec_lo, exec_lo, s1
	s_waitcnt lgkmcnt(0)
	s_barrier
	buffer_gl0_inv
	s_and_saveexec_b32 s1, s0
	s_cbranch_execz .LBB48_28
; %bb.27:
	ds_load_b64 v[5:6], v13 offset:6656
	s_waitcnt lgkmcnt(0)
	ds_store_b64 v15, v[5:6] offset:3080
.LBB48_28:
	s_or_b32 exec_lo, exec_lo, s1
	s_waitcnt lgkmcnt(0)
	s_barrier
	buffer_gl0_inv
	s_and_saveexec_b32 s1, s0
	s_cbranch_execz .LBB48_34
; %bb.29:
	v_cmp_ne_u32_e32 vcc_lo, 0, v0
	v_lshlrev_b32_e32 v0, 3, v14
                                        ; implicit-def: $vgpr6
	s_and_saveexec_b32 s0, vcc_lo
	s_delay_alu instid0(SALU_CYCLE_1)
	s_xor_b32 s0, exec_lo, s0
	s_cbranch_execz .LBB48_31
; %bb.30:
	ds_load_2addr_stride64_b64 v[5:8], v0 offset1:2
	v_add_nc_u32_e32 v9, 0x800, v0
	v_add_nc_u32_e32 v14, 0xc00, v0
	ds_load_2addr_b64 v[9:12], v9 offset1:127
	ds_load_2addr_b64 v[14:17], v14 offset0:1 offset1:128
	s_waitcnt lgkmcnt(2)
	v_mul_f32_e32 v18, v8, v8
	s_delay_alu instid0(VALU_DEP_1) | instskip(SKIP_2) | instid1(VALU_DEP_2)
	v_fmac_f32_e32 v18, v7, v7
	s_waitcnt lgkmcnt(0)
	v_mul_f32_e32 v24, v15, v9
	v_div_scale_f32 v19, null, v18, v18, 1.0
	s_delay_alu instid0(VALU_DEP_1) | instskip(SKIP_2) | instid1(VALU_DEP_1)
	v_rcp_f32_e32 v20, v19
	s_waitcnt_depctr 0xfff
	v_fma_f32 v21, -v19, v20, 1.0
	v_dual_fmac_f32 v20, v21, v20 :: v_dual_mul_f32 v21, v12, v5
	v_div_scale_f32 v22, vcc_lo, 1.0, v18, 1.0
	v_mul_f32_e64 v12, v12, -v6
	s_delay_alu instid0(VALU_DEP_3) | instskip(NEXT) | instid1(VALU_DEP_3)
	v_fmac_f32_e32 v21, v6, v11
	v_mul_f32_e32 v23, v22, v20
	v_mul_f32_e64 v6, v15, -v10
	s_delay_alu instid0(VALU_DEP_4) | instskip(NEXT) | instid1(VALU_DEP_3)
	v_fmac_f32_e32 v12, v5, v11
	v_fma_f32 v5, -v19, v23, v22
	v_fmac_f32_e32 v24, v10, v14
	v_sub_f32_e32 v10, v17, v21
	s_delay_alu instid0(VALU_DEP_3) | instskip(SKIP_1) | instid1(VALU_DEP_3)
	v_fmac_f32_e32 v23, v5, v20
	v_dual_sub_f32 v5, v16, v12 :: v_dual_fmac_f32 v6, v9, v14
	v_sub_f32_e32 v9, v10, v24
	s_delay_alu instid0(VALU_DEP_3) | instskip(NEXT) | instid1(VALU_DEP_2)
	v_fma_f32 v10, -v19, v23, v22
	v_dual_sub_f32 v5, v5, v6 :: v_dual_mul_f32 v6, v8, v9
	s_delay_alu instid0(VALU_DEP_2) | instskip(NEXT) | instid1(VALU_DEP_2)
	v_div_fmas_f32 v10, v10, v20, v23
	v_mul_f32_e64 v8, v8, -v5
	s_delay_alu instid0(VALU_DEP_3) | instskip(NEXT) | instid1(VALU_DEP_3)
	v_fmac_f32_e32 v6, v5, v7
	v_div_fixup_f32 v10, v10, v18, 1.0
	s_delay_alu instid0(VALU_DEP_1) | instskip(NEXT) | instid1(VALU_DEP_1)
	v_dual_fmac_f32 v8, v9, v7 :: v_dual_mul_f32 v5, v10, v6
	v_mul_f32_e32 v6, v10, v8
.LBB48_31:
	s_and_not1_saveexec_b32 s0, s0
	s_cbranch_execz .LBB48_33
; %bb.32:
	ds_load_2addr_stride64_b64 v[5:8], v0 offset0:2 offset1:4
	v_add_nc_u32_e32 v9, 0xc00, v0
	ds_load_2addr_b64 v[9:12], v9 offset0:1 offset1:128
	s_waitcnt lgkmcnt(1)
	v_mul_f32_e32 v14, v6, v6
	s_waitcnt lgkmcnt(0)
	s_delay_alu instid0(VALU_DEP_1) | instskip(SKIP_1) | instid1(VALU_DEP_2)
	v_dual_fmac_f32 v14, v5, v5 :: v_dual_mul_f32 v19, v10, v7
	v_mul_f32_e64 v10, v10, -v8
	v_div_scale_f32 v15, null, v14, v14, 1.0
	v_div_scale_f32 v18, vcc_lo, 1.0, v14, 1.0
	s_delay_alu instid0(VALU_DEP_4) | instskip(NEXT) | instid1(VALU_DEP_3)
	v_fmac_f32_e32 v19, v8, v9
	v_rcp_f32_e32 v16, v15
	v_fmac_f32_e32 v10, v7, v9
	s_waitcnt_depctr 0xfff
	v_fma_f32 v17, -v15, v16, 1.0
	s_delay_alu instid0(VALU_DEP_1) | instskip(NEXT) | instid1(VALU_DEP_1)
	v_fmac_f32_e32 v16, v17, v16
	v_mul_f32_e32 v17, v18, v16
	s_delay_alu instid0(VALU_DEP_1) | instskip(NEXT) | instid1(VALU_DEP_1)
	v_fma_f32 v20, -v15, v17, v18
	v_fmac_f32_e32 v17, v20, v16
	s_delay_alu instid0(VALU_DEP_1) | instskip(NEXT) | instid1(VALU_DEP_1)
	v_fma_f32 v8, -v15, v17, v18
	v_div_fmas_f32 v8, v8, v16, v17
	s_delay_alu instid0(VALU_DEP_1) | instskip(SKIP_2) | instid1(VALU_DEP_1)
	v_div_fixup_f32 v8, v8, v14, 1.0
	v_sub_f32_e32 v9, v11, v10
	v_sub_f32_e32 v7, v12, v19
	v_mul_f32_e32 v10, v6, v7
	s_delay_alu instid0(VALU_DEP_3) | instskip(NEXT) | instid1(VALU_DEP_2)
	v_mul_f32_e64 v6, v6, -v9
	v_fmac_f32_e32 v10, v9, v5
	s_delay_alu instid0(VALU_DEP_1) | instskip(NEXT) | instid1(VALU_DEP_1)
	v_dual_fmac_f32 v6, v7, v5 :: v_dual_mul_f32 v5, v8, v10
	v_mul_f32_e32 v6, v6, v8
.LBB48_33:
	s_or_b32 exec_lo, exec_lo, s0
	ds_store_b64 v0, v[5:6] offset:3072
.LBB48_34:
	s_or_b32 exec_lo, exec_lo, s1
	s_waitcnt lgkmcnt(0)
	s_barrier
	buffer_gl0_inv
	ds_load_2addr_stride64_b64 v[5:8], v13 offset0:6 offset1:7
	s_waitcnt lgkmcnt(0)
	s_clause 0x1
	global_store_b64 v[1:2], v[5:6], off
	global_store_b64 v[3:4], v[7:8], off
	s_nop 0
	s_sendmsg sendmsg(MSG_DEALLOC_VGPRS)
	s_endpgm
	.section	.rodata,"a",@progbits
	.p2align	6, 0x0
	.amdhsa_kernel _ZN9rocsparseL51gtsv_nopivot_strided_batch_crpcr_pow2_shared_kernelILj64ELj64E21rocsparse_complex_numIfEEEviiiPKT1_S5_S5_PS3_
		.amdhsa_group_segment_fixed_size 7680
		.amdhsa_private_segment_fixed_size 0
		.amdhsa_kernarg_size 48
		.amdhsa_user_sgpr_count 15
		.amdhsa_user_sgpr_dispatch_ptr 0
		.amdhsa_user_sgpr_queue_ptr 0
		.amdhsa_user_sgpr_kernarg_segment_ptr 1
		.amdhsa_user_sgpr_dispatch_id 0
		.amdhsa_user_sgpr_private_segment_size 0
		.amdhsa_wavefront_size32 1
		.amdhsa_uses_dynamic_stack 0
		.amdhsa_enable_private_segment 0
		.amdhsa_system_sgpr_workgroup_id_x 1
		.amdhsa_system_sgpr_workgroup_id_y 0
		.amdhsa_system_sgpr_workgroup_id_z 0
		.amdhsa_system_sgpr_workgroup_info 0
		.amdhsa_system_vgpr_workitem_id 0
		.amdhsa_next_free_vgpr 48
		.amdhsa_next_free_sgpr 16
		.amdhsa_reserve_vcc 1
		.amdhsa_float_round_mode_32 0
		.amdhsa_float_round_mode_16_64 0
		.amdhsa_float_denorm_mode_32 3
		.amdhsa_float_denorm_mode_16_64 3
		.amdhsa_dx10_clamp 1
		.amdhsa_ieee_mode 1
		.amdhsa_fp16_overflow 0
		.amdhsa_workgroup_processor_mode 1
		.amdhsa_memory_ordered 1
		.amdhsa_forward_progress 0
		.amdhsa_shared_vgpr_count 0
		.amdhsa_exception_fp_ieee_invalid_op 0
		.amdhsa_exception_fp_denorm_src 0
		.amdhsa_exception_fp_ieee_div_zero 0
		.amdhsa_exception_fp_ieee_overflow 0
		.amdhsa_exception_fp_ieee_underflow 0
		.amdhsa_exception_fp_ieee_inexact 0
		.amdhsa_exception_int_div_zero 0
	.end_amdhsa_kernel
	.section	.text._ZN9rocsparseL51gtsv_nopivot_strided_batch_crpcr_pow2_shared_kernelILj64ELj64E21rocsparse_complex_numIfEEEviiiPKT1_S5_S5_PS3_,"axG",@progbits,_ZN9rocsparseL51gtsv_nopivot_strided_batch_crpcr_pow2_shared_kernelILj64ELj64E21rocsparse_complex_numIfEEEviiiPKT1_S5_S5_PS3_,comdat
.Lfunc_end48:
	.size	_ZN9rocsparseL51gtsv_nopivot_strided_batch_crpcr_pow2_shared_kernelILj64ELj64E21rocsparse_complex_numIfEEEviiiPKT1_S5_S5_PS3_, .Lfunc_end48-_ZN9rocsparseL51gtsv_nopivot_strided_batch_crpcr_pow2_shared_kernelILj64ELj64E21rocsparse_complex_numIfEEEviiiPKT1_S5_S5_PS3_
                                        ; -- End function
	.section	.AMDGPU.csdata,"",@progbits
; Kernel info:
; codeLenInByte = 5356
; NumSgprs: 18
; NumVgprs: 48
; ScratchSize: 0
; MemoryBound: 0
; FloatMode: 240
; IeeeMode: 1
; LDSByteSize: 7680 bytes/workgroup (compile time only)
; SGPRBlocks: 2
; VGPRBlocks: 5
; NumSGPRsForWavesPerEU: 18
; NumVGPRsForWavesPerEU: 48
; Occupancy: 9
; WaveLimiterHint : 0
; COMPUTE_PGM_RSRC2:SCRATCH_EN: 0
; COMPUTE_PGM_RSRC2:USER_SGPR: 15
; COMPUTE_PGM_RSRC2:TRAP_HANDLER: 0
; COMPUTE_PGM_RSRC2:TGID_X_EN: 1
; COMPUTE_PGM_RSRC2:TGID_Y_EN: 0
; COMPUTE_PGM_RSRC2:TGID_Z_EN: 0
; COMPUTE_PGM_RSRC2:TIDIG_COMP_CNT: 0
	.section	.text._ZN9rocsparseL51gtsv_nopivot_strided_batch_crpcr_pow2_shared_kernelILj128ELj64E21rocsparse_complex_numIfEEEviiiPKT1_S5_S5_PS3_,"axG",@progbits,_ZN9rocsparseL51gtsv_nopivot_strided_batch_crpcr_pow2_shared_kernelILj128ELj64E21rocsparse_complex_numIfEEEviiiPKT1_S5_S5_PS3_,comdat
	.globl	_ZN9rocsparseL51gtsv_nopivot_strided_batch_crpcr_pow2_shared_kernelILj128ELj64E21rocsparse_complex_numIfEEEviiiPKT1_S5_S5_PS3_ ; -- Begin function _ZN9rocsparseL51gtsv_nopivot_strided_batch_crpcr_pow2_shared_kernelILj128ELj64E21rocsparse_complex_numIfEEEviiiPKT1_S5_S5_PS3_
	.p2align	8
	.type	_ZN9rocsparseL51gtsv_nopivot_strided_batch_crpcr_pow2_shared_kernelILj128ELj64E21rocsparse_complex_numIfEEEviiiPKT1_S5_S5_PS3_,@function
_ZN9rocsparseL51gtsv_nopivot_strided_batch_crpcr_pow2_shared_kernelILj128ELj64E21rocsparse_complex_numIfEEEviiiPKT1_S5_S5_PS3_: ; @_ZN9rocsparseL51gtsv_nopivot_strided_batch_crpcr_pow2_shared_kernelILj128ELj64E21rocsparse_complex_numIfEEEviiiPKT1_S5_S5_PS3_
; %bb.0:
	s_clause 0x1
	s_load_b32 s8, s[0:1], 0x8
	s_load_b256 s[0:7], s[0:1], 0x10
	s_waitcnt lgkmcnt(0)
	v_mad_u64_u32 v[1:2], null, s15, s8, v[0:1]
	s_delay_alu instid0(VALU_DEP_1) | instskip(SKIP_1) | instid1(VALU_DEP_2)
	v_dual_mov_b32 v4, 0 :: v_dual_add_nc_u32 v3, 0x80, v1
	v_ashrrev_i32_e32 v2, 31, v1
	v_lshlrev_b64 v[3:4], 3, v[3:4]
	s_delay_alu instid0(VALU_DEP_2) | instskip(NEXT) | instid1(VALU_DEP_1)
	v_lshlrev_b64 v[1:2], 3, v[1:2]
	v_add_co_u32 v5, vcc_lo, s0, v1
	s_delay_alu instid0(VALU_DEP_2) | instskip(NEXT) | instid1(VALU_DEP_4)
	v_add_co_ci_u32_e32 v6, vcc_lo, s1, v2, vcc_lo
	v_add_co_u32 v7, vcc_lo, s0, v3
	v_add_co_ci_u32_e32 v8, vcc_lo, s1, v4, vcc_lo
	v_add_co_u32 v9, vcc_lo, s2, v1
	;; [unrolled: 2-line block ×7, first 2 shown]
	v_add_co_ci_u32_e32 v4, vcc_lo, s7, v4, vcc_lo
	s_clause 0x1
	global_load_b64 v[17:18], v[5:6], off
	global_load_b64 v[7:8], v[7:8], off
	s_clause 0x1
	global_load_b64 v[9:10], v[9:10], off
	global_load_b64 v[11:12], v[11:12], off
	;; [unrolled: 3-line block ×4, first 2 shown]
	v_lshlrev_b32_e32 v13, 3, v0
	v_add_nc_u32_e32 v6, 1, v0
	v_cmp_gt_u32_e64 s0, 0x80, v0
	s_waitcnt vmcnt(6)
	ds_store_2addr_stride64_b64 v13, v[17:18], v[7:8] offset1:2
	s_waitcnt vmcnt(4)
	ds_store_2addr_stride64_b64 v13, v[9:10], v[11:12] offset0:4 offset1:6
	s_waitcnt vmcnt(2)
	ds_store_2addr_stride64_b64 v13, v[19:20], v[14:15] offset0:8 offset1:10
	;; [unrolled: 2-line block ×3, first 2 shown]
	s_waitcnt lgkmcnt(0)
	s_barrier
	buffer_gl0_inv
	s_and_saveexec_b32 s2, s0
	s_cbranch_execz .LBB49_2
; %bb.1:
	v_lshlrev_b32_e32 v32, 4, v6
	v_lshlrev_b32_e32 v5, 1, v6
	ds_load_2addr_b64 v[7:10], v32 offset0:254 offset1:255
	v_min_u32_e32 v5, 0xff, v5
	s_delay_alu instid0(VALU_DEP_1)
	v_lshlrev_b32_e32 v5, 3, v5
	s_waitcnt lgkmcnt(0)
	v_mul_f32_e32 v33, v8, v8
	ds_load_2addr_stride64_b64 v[14:17], v5 offset1:4
	ds_load_b128 v[18:21], v32 offset:4080
	v_add_nc_u32_e32 v39, -8, v32
	v_add_nc_u32_e32 v27, -16, v32
	ds_load_b64 v[30:31], v27
	s_waitcnt lgkmcnt(2)
	v_mul_f32_e32 v34, v17, v17
	s_delay_alu instid0(VALU_DEP_1) | instskip(NEXT) | instid1(VALU_DEP_1)
	v_fmac_f32_e32 v34, v16, v16
	v_div_scale_f32 v37, null, v34, v34, 1.0
	v_div_scale_f32 v42, s1, 1.0, v34, 1.0
	s_delay_alu instid0(VALU_DEP_2) | instskip(SKIP_2) | instid1(VALU_DEP_1)
	v_rcp_f32_e32 v38, v37
	s_waitcnt_depctr 0xfff
	v_fma_f32 v22, -v37, v38, 1.0
	v_dual_fmac_f32 v33, v7, v7 :: v_dual_fmac_f32 v38, v22, v38
	s_delay_alu instid0(VALU_DEP_1) | instskip(SKIP_4) | instid1(VALU_DEP_1)
	v_div_scale_f32 v35, null, v33, v33, 1.0
	v_div_scale_f32 v40, vcc_lo, 1.0, v33, 1.0
	ds_load_b128 v[22:25], v32 offset:8176
	v_rcp_f32_e32 v36, v35
	v_mul_f32_e32 v43, v42, v38
	v_fma_f32 v45, -v37, v43, v42
	v_add_nc_u32_e32 v44, 0x1f8, v32
	s_waitcnt_depctr 0xfff
	v_fma_f32 v11, -v35, v36, 1.0
	s_delay_alu instid0(VALU_DEP_1) | instskip(SKIP_2) | instid1(VALU_DEP_1)
	v_dual_fmac_f32 v43, v45, v38 :: v_dual_fmac_f32 v36, v11, v36
	ds_load_b64 v[11:12], v39
	v_mul_f32_e32 v41, v40, v36
	v_fma_f32 v26, -v35, v41, v40
	s_delay_alu instid0(VALU_DEP_1)
	v_fmac_f32_e32 v41, v26, v36
	ds_load_2addr_stride64_b64 v[26:29], v5 offset0:8 offset1:16
	v_fma_f32 v35, -v35, v41, v40
	s_waitcnt lgkmcnt(1)
	v_mul_f32_e32 v5, v8, v12
	v_mul_f32_e64 v8, v8, -v11
	s_delay_alu instid0(VALU_DEP_3) | instskip(SKIP_1) | instid1(VALU_DEP_2)
	v_div_fmas_f32 v35, v35, v36, v41
	s_mov_b32 vcc_lo, s1
	v_fmac_f32_e32 v8, v12, v7
	s_delay_alu instid0(VALU_DEP_2)
	v_div_fixup_f32 v12, v35, v33, 1.0
	v_fmac_f32_e32 v5, v11, v7
	v_fma_f32 v11, -v37, v43, v42
	v_mul_f32_e32 v7, v17, v21
	v_mul_f32_e64 v17, v17, -v20
	v_mul_f32_e32 v8, v8, v12
	v_mul_f32_e32 v5, v12, v5
	v_div_fmas_f32 v11, v11, v38, v43
	s_delay_alu instid0(VALU_DEP_3) | instskip(SKIP_1) | instid1(VALU_DEP_3)
	v_mul_f32_e64 v12, v8, -v19
	v_fmac_f32_e32 v7, v20, v16
	v_div_fixup_f32 v11, v11, v34, 1.0
	v_mul_f32_e64 v20, v8, -v23
	s_delay_alu instid0(VALU_DEP_4) | instskip(SKIP_1) | instid1(VALU_DEP_4)
	v_dual_fmac_f32 v17, v21, v16 :: v_dual_fmac_f32 v12, v18, v5
	v_mul_f32_e32 v16, v8, v18
	v_mul_f32_e32 v34, v11, v7
	s_delay_alu instid0(VALU_DEP_3) | instskip(NEXT) | instid1(VALU_DEP_1)
	v_dual_fmac_f32 v20, v22, v5 :: v_dual_mul_f32 v11, v17, v11
	v_mul_f32_e64 v17, v11, -v15
	v_mul_f32_e32 v18, v11, v14
	s_delay_alu instid0(VALU_DEP_2) | instskip(SKIP_1) | instid1(VALU_DEP_3)
	v_fmac_f32_e32 v17, v14, v34
	v_mul_f32_e32 v21, v8, v22
	v_fmac_f32_e32 v18, v15, v34
	v_fmac_f32_e32 v16, v19, v5
	s_delay_alu instid0(VALU_DEP_1) | instskip(NEXT) | instid1(VALU_DEP_1)
	v_dual_fmac_f32 v21, v23, v5 :: v_dual_sub_f32 v16, v10, v16
	v_sub_f32_e32 v19, v25, v21
	s_waitcnt lgkmcnt(0)
	v_mul_f32_e32 v21, v11, v28
	s_delay_alu instid0(VALU_DEP_3) | instskip(NEXT) | instid1(VALU_DEP_2)
	v_sub_f32_e32 v15, v16, v18
	v_fmac_f32_e32 v21, v29, v34
	v_mul_f32_e32 v33, v8, v31
	v_mul_f32_e64 v8, v8, -v30
	s_delay_alu instid0(VALU_DEP_2) | instskip(NEXT) | instid1(VALU_DEP_2)
	v_fma_f32 v7, -v30, v5, v33
	v_fma_f32 v8, -v31, v5, v8
	v_sub_f32_e32 v5, v9, v12
	v_sub_f32_e32 v12, v24, v20
	v_mul_f32_e64 v20, v11, -v29
	v_mul_f32_e32 v9, v11, v27
	v_mul_f32_e64 v10, v11, -v26
	v_sub_f32_e32 v14, v5, v17
	s_delay_alu instid0(VALU_DEP_4) | instskip(NEXT) | instid1(VALU_DEP_4)
	v_fmac_f32_e32 v20, v28, v34
	v_fma_f32 v9, -v26, v34, v9
	s_delay_alu instid0(VALU_DEP_4) | instskip(NEXT) | instid1(VALU_DEP_3)
	v_fma_f32 v10, -v27, v34, v10
	v_dual_sub_f32 v11, v12, v20 :: v_dual_sub_f32 v12, v19, v21
	ds_store_b64 v32, v[11:12] offset:8184
	ds_store_b64 v39, v[7:8]
	ds_store_2addr_stride64_b64 v44, v[14:15], v[9:10] offset0:3 offset1:7
.LBB49_2:
	s_or_b32 exec_lo, exec_lo, s2
	v_cmp_gt_u32_e64 s1, 64, v0
	v_lshlrev_b32_e32 v14, 5, v6
	s_waitcnt lgkmcnt(0)
	s_barrier
	buffer_gl0_inv
	s_and_saveexec_b32 s3, s1
	s_cbranch_execz .LBB49_4
; %bb.3:
	ds_load_2addr_b64 v[7:10], v14 offset0:253 offset1:255
	v_lshl_or_b32 v5, v6, 2, 1
	v_subrev_nc_u32_e32 v27, 24, v14
	v_add_nc_u32_e32 v38, -8, v14
	v_add_nc_u32_e32 v24, 0x1800, v14
	s_delay_alu instid0(VALU_DEP_4) | instskip(SKIP_3) | instid1(VALU_DEP_1)
	v_min_u32_e32 v5, 0xff, v5
	ds_load_b64 v[31:32], v27
	s_waitcnt lgkmcnt(1)
	v_mul_f32_e32 v33, v8, v8
	v_fmac_f32_e32 v33, v7, v7
	s_delay_alu instid0(VALU_DEP_1) | instskip(SKIP_1) | instid1(VALU_DEP_2)
	v_div_scale_f32 v34, null, v33, v33, 1.0
	v_div_scale_f32 v39, vcc_lo, 1.0, v33, 1.0
	v_rcp_f32_e32 v36, v34
	s_waitcnt_depctr 0xfff
	v_fma_f32 v11, -v34, v36, 1.0
	s_delay_alu instid0(VALU_DEP_1) | instskip(SKIP_3) | instid1(VALU_DEP_1)
	v_dual_fmac_f32 v36, v11, v36 :: v_dual_lshlrev_b32 v5, 3, v5
	ds_load_2addr_stride64_b64 v[15:18], v5 offset1:4
	ds_load_b64 v[11:12], v38
	v_mul_f32_e32 v41, v39, v36
	v_fma_f32 v28, -v34, v41, v39
	s_delay_alu instid0(VALU_DEP_1)
	v_fmac_f32_e32 v41, v28, v36
	ds_load_2addr_stride64_b64 v[27:30], v5 offset0:8 offset1:16
	s_waitcnt lgkmcnt(2)
	v_mul_f32_e32 v35, v18, v18
	s_waitcnt lgkmcnt(1)
	v_mul_f32_e32 v5, v8, v12
	v_mul_f32_e64 v8, v8, -v11
	v_add_nc_u32_e32 v19, 0x800, v14
	s_delay_alu instid0(VALU_DEP_2) | instskip(SKIP_3) | instid1(VALU_DEP_2)
	v_dual_fmac_f32 v35, v17, v17 :: v_dual_fmac_f32 v8, v12, v7
	ds_load_2addr_b64 v[19:22], v19 offset0:253 offset1:255
	v_div_scale_f32 v37, null, v35, v35, 1.0
	v_div_scale_f32 v42, s2, 1.0, v35, 1.0
	v_rcp_f32_e32 v40, v37
	s_waitcnt_depctr 0xfff
	v_fma_f32 v23, -v37, v40, 1.0
	s_waitcnt lgkmcnt(0)
	v_mul_f32_e32 v12, v18, v22
	v_mul_f32_e64 v18, v18, -v21
	s_delay_alu instid0(VALU_DEP_3)
	v_fmac_f32_e32 v40, v23, v40
	ds_load_2addr_b64 v[23:26], v24 offset0:253 offset1:255
	v_fmac_f32_e32 v12, v21, v17
	v_fma_f32 v34, -v34, v41, v39
	v_mul_f32_e32 v44, v42, v40
	v_fmac_f32_e32 v18, v22, v17
	s_delay_alu instid0(VALU_DEP_3) | instskip(NEXT) | instid1(VALU_DEP_3)
	v_div_fmas_f32 v34, v34, v36, v41
	v_fma_f32 v39, -v37, v44, v42
	v_add_nc_u32_e32 v43, 0x1f8, v14
	s_mov_b32 vcc_lo, s2
	s_delay_alu instid0(VALU_DEP_3) | instskip(NEXT) | instid1(VALU_DEP_3)
	v_div_fixup_f32 v33, v34, v33, 1.0
	v_fmac_f32_e32 v44, v39, v40
	s_delay_alu instid0(VALU_DEP_2) | instskip(NEXT) | instid1(VALU_DEP_2)
	v_dual_fmac_f32 v5, v11, v7 :: v_dual_mul_f32 v8, v8, v33
	v_fma_f32 v7, -v37, v44, v42
	s_waitcnt lgkmcnt(0)
	s_delay_alu instid0(VALU_DEP_2) | instskip(NEXT) | instid1(VALU_DEP_2)
	v_dual_mul_f32 v5, v33, v5 :: v_dual_mul_f32 v22, v8, v23
	v_div_fmas_f32 v7, v7, v40, v44
	v_mul_f32_e64 v11, v8, -v20
	v_mul_f32_e64 v21, v8, -v24
	s_delay_alu instid0(VALU_DEP_3) | instskip(SKIP_1) | instid1(VALU_DEP_4)
	v_div_fixup_f32 v34, v7, v35, 1.0
	v_mul_f32_e32 v17, v8, v19
	v_fmac_f32_e32 v11, v19, v5
	v_mul_f32_e32 v33, v8, v32
	v_mul_f32_e64 v8, v8, -v31
	v_fmac_f32_e32 v22, v24, v5
	v_fmac_f32_e32 v21, v23, v5
	s_delay_alu instid0(VALU_DEP_4) | instskip(NEXT) | instid1(VALU_DEP_4)
	v_fma_f32 v7, -v31, v5, v33
	v_fma_f32 v8, -v32, v5, v8
	s_delay_alu instid0(VALU_DEP_4)
	v_sub_f32_e32 v19, v26, v22
	v_fmac_f32_e32 v17, v20, v5
	v_mul_f32_e32 v5, v34, v12
	v_mul_f32_e32 v12, v18, v34
	v_sub_f32_e32 v18, v9, v11
	v_sub_f32_e32 v11, v25, v21
	;; [unrolled: 1-line block ×3, first 2 shown]
	s_delay_alu instid0(VALU_DEP_4)
	v_mul_f32_e64 v22, v12, -v30
	v_mul_f32_e32 v23, v12, v29
	v_mul_f32_e64 v20, v12, -v16
	v_mul_f32_e32 v21, v12, v15
	v_mul_f32_e64 v10, v12, -v27
	v_fmac_f32_e32 v22, v29, v5
	v_fmac_f32_e32 v23, v30, v5
	;; [unrolled: 1-line block ×4, first 2 shown]
	v_mul_f32_e32 v9, v12, v28
	v_sub_f32_e32 v11, v11, v22
	v_sub_f32_e32 v12, v19, v23
	v_fma_f32 v10, -v28, v5, v10
	v_sub_f32_e32 v16, v17, v21
	v_fma_f32 v9, -v27, v5, v9
	v_sub_f32_e32 v15, v18, v20
	ds_store_b64 v14, v[11:12] offset:8184
	ds_store_b64 v38, v[7:8]
	ds_store_2addr_stride64_b64 v43, v[15:16], v[9:10] offset0:3 offset1:7
.LBB49_4:
	s_or_b32 exec_lo, exec_lo, s3
	s_waitcnt lgkmcnt(0)
	s_barrier
	buffer_gl0_inv
	s_and_saveexec_b32 s2, s1
	s_cbranch_execz .LBB49_6
; %bb.5:
	v_add_nc_u32_e32 v5, 0x1f8, v14
	v_add_nc_u32_e32 v11, -8, v14
	ds_load_2addr_stride64_b64 v[7:10], v5 offset0:3 offset1:7
	ds_load_b64 v[11:12], v11
	ds_load_b64 v[15:16], v14 offset:8184
	s_waitcnt lgkmcnt(1)
	ds_store_2addr_stride64_b64 v13, v[11:12], v[7:8] offset0:20 offset1:21
	s_waitcnt lgkmcnt(1)
	ds_store_2addr_stride64_b64 v13, v[9:10], v[15:16] offset0:22 offset1:24
.LBB49_6:
	s_or_b32 exec_lo, exec_lo, s2
	v_or_b32_e32 v16, 0x2800, v13
	v_or_b32_e32 v17, 0x2c00, v13
	v_add_nc_u32_e32 v18, 0x2a00, v13
	v_or_b32_e32 v15, 0x3000, v13
	s_waitcnt lgkmcnt(0)
	s_barrier
	buffer_gl0_inv
                                        ; implicit-def: $vgpr11
                                        ; implicit-def: $vgpr7
                                        ; implicit-def: $vgpr9
                                        ; implicit-def: $vgpr5
	s_and_saveexec_b32 s3, s1
	s_cbranch_execz .LBB49_8
; %bb.7:
	v_max_u32_e32 v5, 1, v0
	v_min_u32_e32 v6, 63, v6
	s_delay_alu instid0(VALU_DEP_2) | instskip(NEXT) | instid1(VALU_DEP_2)
	v_lshlrev_b32_e32 v5, 3, v5
	v_lshlrev_b32_e32 v23, 3, v6
	s_delay_alu instid0(VALU_DEP_2)
	v_add_nc_u32_e32 v27, 0x1f8, v5
	ds_load_2addr_stride64_b64 v[7:10], v23 offset0:20 offset1:21
	ds_load_2addr_stride64_b64 v[19:22], v27 offset0:19 offset1:20
	ds_load_b64 v[5:6], v16
	ds_load_b64 v[11:12], v17
	;; [unrolled: 1-line block ×4, first 2 shown]
	s_waitcnt lgkmcnt(5)
	v_mul_f32_e32 v35, v10, v10
	s_waitcnt lgkmcnt(4)
	s_delay_alu instid0(VALU_DEP_1) | instskip(NEXT) | instid1(VALU_DEP_1)
	v_dual_mul_f32 v36, v22, v22 :: v_dual_fmac_f32 v35, v9, v9
	v_fmac_f32_e32 v36, v21, v21
	s_delay_alu instid0(VALU_DEP_2) | instskip(NEXT) | instid1(VALU_DEP_2)
	v_div_scale_f32 v37, null, v35, v35, 1.0
	v_div_scale_f32 v38, null, v36, v36, 1.0
	v_div_scale_f32 v42, s2, 1.0, v35, 1.0
	s_delay_alu instid0(VALU_DEP_3) | instskip(NEXT) | instid1(VALU_DEP_2)
	v_rcp_f32_e32 v39, v37
	v_rcp_f32_e32 v40, v38
	v_div_scale_f32 v41, vcc_lo, 1.0, v36, 1.0
	s_waitcnt_depctr 0xfff
	v_fma_f32 v24, -v37, v39, 1.0
	v_fma_f32 v25, -v38, v40, 1.0
	s_delay_alu instid0(VALU_DEP_1) | instskip(SKIP_3) | instid1(VALU_DEP_1)
	v_dual_fmac_f32 v39, v24, v39 :: v_dual_fmac_f32 v40, v25, v40
	ds_load_2addr_stride64_b64 v[23:26], v23 offset0:22 offset1:24
	ds_load_2addr_stride64_b64 v[27:30], v27 offset0:21 offset1:23
	v_mul_f32_e32 v44, v42, v39
	v_fma_f32 v46, -v37, v44, v42
	s_delay_alu instid0(VALU_DEP_1) | instskip(NEXT) | instid1(VALU_DEP_1)
	v_dual_mul_f32 v43, v41, v40 :: v_dual_fmac_f32 v44, v46, v39
	v_fma_f32 v45, -v38, v43, v41
	s_waitcnt lgkmcnt(5)
	v_mul_f32_e32 v46, v22, v6
	v_mul_f32_e64 v22, v22, -v5
	v_fma_f32 v37, -v37, v44, v42
	v_fmac_f32_e32 v43, v45, v40
	s_waitcnt lgkmcnt(4)
	v_mul_f32_e32 v45, v10, v12
	v_fmac_f32_e32 v22, v6, v21
	v_mul_f32_e64 v10, v10, -v11
	v_fmac_f32_e32 v46, v5, v21
	v_fma_f32 v38, -v38, v43, v41
	s_delay_alu instid0(VALU_DEP_3) | instskip(NEXT) | instid1(VALU_DEP_2)
	v_fmac_f32_e32 v10, v12, v9
	v_div_fmas_f32 v38, v38, v40, v43
	s_mov_b32 vcc_lo, s2
	v_div_fmas_f32 v37, v37, v39, v44
	s_delay_alu instid0(VALU_DEP_2) | instskip(SKIP_1) | instid1(VALU_DEP_3)
	v_div_fixup_f32 v6, v38, v36, 1.0
	v_fmac_f32_e32 v45, v11, v9
	v_div_fixup_f32 v5, v37, v35, 1.0
	s_delay_alu instid0(VALU_DEP_3) | instskip(NEXT) | instid1(VALU_DEP_2)
	v_mul_f32_e32 v9, v22, v6
	v_dual_mul_f32 v6, v6, v46 :: v_dual_mul_f32 v21, v5, v45
	v_mul_f32_e32 v5, v10, v5
	s_waitcnt lgkmcnt(1)
	s_delay_alu instid0(VALU_DEP_1) | instskip(SKIP_4) | instid1(VALU_DEP_3)
	v_mul_f32_e32 v40, v5, v24
	s_waitcnt lgkmcnt(0)
	v_mul_f32_e64 v10, v9, -v28
	v_mul_f32_e64 v12, v9, -v30
	v_mul_f32_e32 v22, v9, v29
	v_dual_mul_f32 v11, v9, v27 :: v_dual_fmac_f32 v10, v27, v6
	s_delay_alu instid0(VALU_DEP_3) | instskip(NEXT) | instid1(VALU_DEP_3)
	v_fmac_f32_e32 v12, v29, v6
	v_fmac_f32_e32 v22, v30, v6
	v_mul_f32_e64 v36, v5, -v8
	v_mul_f32_e32 v37, v5, v7
	v_mul_f32_e64 v38, v5, -v26
	v_fmac_f32_e32 v11, v28, v6
	v_mul_f32_e32 v39, v5, v25
	v_dual_mul_f32 v35, v9, v20 :: v_dual_fmac_f32 v36, v7, v21
	v_mul_f32_e64 v9, v9, -v19
	v_mul_f32_e64 v41, v5, -v23
	v_dual_fmac_f32 v37, v8, v21 :: v_dual_sub_f32 v8, v31, v10
	v_fmac_f32_e32 v38, v25, v21
	v_dual_sub_f32 v10, v32, v11 :: v_dual_fmac_f32 v39, v26, v21
	v_dual_sub_f32 v11, v33, v12 :: v_dual_sub_f32 v12, v34, v22
	v_fma_f32 v5, -v19, v6, v35
	s_delay_alu instid0(VALU_DEP_3)
	v_sub_f32_e32 v10, v10, v37
	v_fma_f32 v6, -v20, v6, v9
	v_fma_f32 v7, -v23, v21, v40
	v_sub_f32_e32 v9, v8, v36
	v_dual_sub_f32 v11, v11, v38 :: v_dual_sub_f32 v12, v12, v39
	v_fma_f32 v8, -v24, v21, v41
.LBB49_8:
	s_or_b32 exec_lo, exec_lo, s3
	s_barrier
	buffer_gl0_inv
	s_and_saveexec_b32 s2, s1
	s_cbranch_execz .LBB49_10
; %bb.9:
	ds_store_b64 v15, v[11:12]
	ds_store_b64 v16, v[5:6]
	ds_store_b64 v18, v[9:10]
	ds_store_b64 v17, v[7:8]
.LBB49_10:
	s_or_b32 exec_lo, exec_lo, s2
	s_waitcnt lgkmcnt(0)
	s_barrier
	buffer_gl0_inv
	s_and_saveexec_b32 s3, s1
	s_cbranch_execz .LBB49_12
; %bb.11:
	v_max_u32_e32 v5, 2, v0
	v_min_u32_e32 v6, 61, v0
	s_delay_alu instid0(VALU_DEP_2) | instskip(NEXT) | instid1(VALU_DEP_2)
	v_lshlrev_b32_e32 v5, 3, v5
	v_lshlrev_b32_e32 v6, 3, v6
	s_delay_alu instid0(VALU_DEP_2) | instskip(NEXT) | instid1(VALU_DEP_2)
	v_add_nc_u32_e32 v19, 0x1f0, v5
	v_add_nc_u32_e32 v23, 16, v6
	ds_load_2addr_stride64_b64 v[5:8], v19 offset0:19 offset1:20
	ds_load_2addr_stride64_b64 v[9:12], v23 offset0:20 offset1:21
	ds_load_b64 v[27:28], v16
	ds_load_b64 v[29:30], v17
	;; [unrolled: 1-line block ×4, first 2 shown]
	s_waitcnt lgkmcnt(5)
	v_mul_f32_e32 v35, v8, v8
	s_waitcnt lgkmcnt(4)
	v_mul_f32_e32 v36, v12, v12
	s_delay_alu instid0(VALU_DEP_1) | instskip(NEXT) | instid1(VALU_DEP_1)
	v_fmac_f32_e32 v36, v11, v11
	v_div_scale_f32 v38, null, v36, v36, 1.0
	v_div_scale_f32 v42, s2, 1.0, v36, 1.0
	s_delay_alu instid0(VALU_DEP_2) | instskip(SKIP_2) | instid1(VALU_DEP_1)
	v_rcp_f32_e32 v40, v38
	s_waitcnt_depctr 0xfff
	v_fma_f32 v21, -v38, v40, 1.0
	v_dual_fmac_f32 v40, v21, v40 :: v_dual_fmac_f32 v35, v7, v7
	s_delay_alu instid0(VALU_DEP_1) | instskip(NEXT) | instid1(VALU_DEP_2)
	v_mul_f32_e32 v44, v42, v40
	v_div_scale_f32 v37, null, v35, v35, 1.0
	v_div_scale_f32 v41, vcc_lo, 1.0, v35, 1.0
	s_delay_alu instid0(VALU_DEP_3) | instskip(NEXT) | instid1(VALU_DEP_3)
	v_fma_f32 v46, -v38, v44, v42
	v_rcp_f32_e32 v39, v37
	s_delay_alu instid0(VALU_DEP_1) | instskip(SKIP_3) | instid1(VALU_DEP_3)
	v_fmac_f32_e32 v44, v46, v40
	s_waitcnt lgkmcnt(2)
	v_mul_f32_e32 v46, v12, v30
	v_mul_f32_e64 v12, v12, -v29
	v_fma_f32 v38, -v38, v44, v42
	s_waitcnt_depctr 0xfff
	v_fma_f32 v20, -v37, v39, 1.0
	v_fmac_f32_e32 v46, v29, v11
	s_delay_alu instid0(VALU_DEP_2) | instskip(SKIP_3) | instid1(VALU_DEP_1)
	v_fmac_f32_e32 v39, v20, v39
	ds_load_2addr_stride64_b64 v[19:22], v19 offset0:21 offset1:23
	ds_load_2addr_stride64_b64 v[23:26], v23 offset0:22 offset1:24
	v_mul_f32_e32 v43, v41, v39
	v_fma_f32 v45, -v37, v43, v41
	s_delay_alu instid0(VALU_DEP_1) | instskip(SKIP_2) | instid1(VALU_DEP_3)
	v_fmac_f32_e32 v43, v45, v39
	v_mul_f32_e32 v45, v8, v28
	v_mul_f32_e64 v8, v8, -v27
	v_fma_f32 v37, -v37, v43, v41
	s_delay_alu instid0(VALU_DEP_3) | instskip(NEXT) | instid1(VALU_DEP_3)
	v_fmac_f32_e32 v45, v27, v7
	v_fmac_f32_e32 v8, v28, v7
	s_delay_alu instid0(VALU_DEP_3) | instskip(SKIP_2) | instid1(VALU_DEP_2)
	v_div_fmas_f32 v37, v37, v39, v43
	s_mov_b32 vcc_lo, s2
	v_div_fmas_f32 v38, v38, v40, v44
	v_div_fixup_f32 v28, v37, v35, 1.0
	v_fmac_f32_e32 v12, v30, v11
	s_delay_alu instid0(VALU_DEP_3) | instskip(NEXT) | instid1(VALU_DEP_1)
	v_div_fixup_f32 v7, v38, v36, 1.0
	v_dual_mul_f32 v27, v7, v46 :: v_dual_mul_f32 v8, v8, v28
	s_waitcnt lgkmcnt(1)
	s_delay_alu instid0(VALU_DEP_1)
	v_mul_f32_e64 v29, v8, -v22
	v_mul_f32_e32 v30, v8, v21
	v_mul_f32_e32 v11, v28, v45
	;; [unrolled: 1-line block ×3, first 2 shown]
	v_mul_f32_e64 v12, v8, -v20
	v_mul_f32_e32 v28, v8, v19
	v_mul_f32_e32 v35, v8, v6
	v_mul_f32_e64 v8, v8, -v5
	v_fmac_f32_e32 v29, v21, v11
	v_fmac_f32_e32 v12, v19, v11
	s_delay_alu instid0(VALU_DEP_3) | instskip(NEXT) | instid1(VALU_DEP_2)
	v_fma_f32 v6, -v6, v11, v8
	v_sub_f32_e32 v8, v31, v12
	v_mul_f32_e64 v36, v7, -v10
	v_mul_f32_e32 v37, v7, v9
	s_waitcnt lgkmcnt(0)
	v_mul_f32_e64 v38, v7, -v26
	v_dual_mul_f32 v39, v7, v25 :: v_dual_fmac_f32 v28, v20, v11
	v_mul_f32_e32 v40, v7, v24
	v_fma_f32 v5, -v5, v11, v35
	v_fmac_f32_e32 v37, v10, v27
	v_fmac_f32_e32 v38, v25, v27
	;; [unrolled: 1-line block ×4, first 2 shown]
	v_dual_sub_f32 v10, v32, v28 :: v_dual_sub_f32 v11, v33, v29
	v_mul_f32_e64 v41, v7, -v23
	v_fmac_f32_e32 v39, v26, v27
	v_fma_f32 v7, -v23, v27, v40
	s_delay_alu instid0(VALU_DEP_4) | instskip(SKIP_2) | instid1(VALU_DEP_2)
	v_dual_sub_f32 v10, v10, v37 :: v_dual_sub_f32 v11, v11, v38
	v_dual_sub_f32 v9, v8, v36 :: v_dual_sub_f32 v12, v34, v30
	v_fma_f32 v8, -v24, v27, v41
	v_sub_f32_e32 v12, v12, v39
.LBB49_12:
	s_or_b32 exec_lo, exec_lo, s3
	s_barrier
	buffer_gl0_inv
	s_and_saveexec_b32 s2, s1
	s_cbranch_execz .LBB49_14
; %bb.13:
	ds_store_b64 v15, v[11:12]
	ds_store_b64 v16, v[5:6]
	;; [unrolled: 1-line block ×4, first 2 shown]
.LBB49_14:
	s_or_b32 exec_lo, exec_lo, s2
	s_waitcnt lgkmcnt(0)
	s_barrier
	buffer_gl0_inv
	s_and_saveexec_b32 s3, s1
	s_cbranch_execz .LBB49_16
; %bb.15:
	v_max_u32_e32 v5, 4, v0
	v_min_u32_e32 v6, 59, v0
	s_delay_alu instid0(VALU_DEP_2) | instskip(NEXT) | instid1(VALU_DEP_2)
	v_lshlrev_b32_e32 v5, 3, v5
	v_lshlrev_b32_e32 v6, 3, v6
	s_delay_alu instid0(VALU_DEP_2) | instskip(NEXT) | instid1(VALU_DEP_2)
	v_add_nc_u32_e32 v19, 0x1e0, v5
	v_add_nc_u32_e32 v23, 32, v6
	ds_load_2addr_stride64_b64 v[5:8], v19 offset0:19 offset1:20
	ds_load_2addr_stride64_b64 v[9:12], v23 offset0:20 offset1:21
	ds_load_b64 v[27:28], v16
	ds_load_b64 v[29:30], v17
	ds_load_b64 v[31:32], v18
	ds_load_b64 v[33:34], v15
	s_waitcnt lgkmcnt(5)
	v_mul_f32_e32 v35, v8, v8
	s_waitcnt lgkmcnt(4)
	v_mul_f32_e32 v36, v12, v12
	s_delay_alu instid0(VALU_DEP_1) | instskip(NEXT) | instid1(VALU_DEP_1)
	v_fmac_f32_e32 v36, v11, v11
	v_div_scale_f32 v38, null, v36, v36, 1.0
	v_div_scale_f32 v42, s2, 1.0, v36, 1.0
	s_delay_alu instid0(VALU_DEP_2) | instskip(SKIP_2) | instid1(VALU_DEP_1)
	v_rcp_f32_e32 v40, v38
	s_waitcnt_depctr 0xfff
	v_fma_f32 v21, -v38, v40, 1.0
	v_dual_fmac_f32 v40, v21, v40 :: v_dual_fmac_f32 v35, v7, v7
	s_delay_alu instid0(VALU_DEP_1) | instskip(NEXT) | instid1(VALU_DEP_2)
	v_mul_f32_e32 v44, v42, v40
	v_div_scale_f32 v37, null, v35, v35, 1.0
	v_div_scale_f32 v41, vcc_lo, 1.0, v35, 1.0
	s_delay_alu instid0(VALU_DEP_3) | instskip(NEXT) | instid1(VALU_DEP_3)
	v_fma_f32 v46, -v38, v44, v42
	v_rcp_f32_e32 v39, v37
	s_delay_alu instid0(VALU_DEP_1) | instskip(SKIP_3) | instid1(VALU_DEP_3)
	v_fmac_f32_e32 v44, v46, v40
	s_waitcnt lgkmcnt(2)
	v_mul_f32_e32 v46, v12, v30
	v_mul_f32_e64 v12, v12, -v29
	v_fma_f32 v38, -v38, v44, v42
	s_waitcnt_depctr 0xfff
	v_fma_f32 v20, -v37, v39, 1.0
	v_fmac_f32_e32 v46, v29, v11
	s_delay_alu instid0(VALU_DEP_2) | instskip(SKIP_3) | instid1(VALU_DEP_1)
	v_fmac_f32_e32 v39, v20, v39
	ds_load_2addr_stride64_b64 v[19:22], v19 offset0:21 offset1:23
	ds_load_2addr_stride64_b64 v[23:26], v23 offset0:22 offset1:24
	v_mul_f32_e32 v43, v41, v39
	v_fma_f32 v45, -v37, v43, v41
	s_delay_alu instid0(VALU_DEP_1) | instskip(SKIP_2) | instid1(VALU_DEP_3)
	v_fmac_f32_e32 v43, v45, v39
	v_mul_f32_e32 v45, v8, v28
	v_mul_f32_e64 v8, v8, -v27
	v_fma_f32 v37, -v37, v43, v41
	s_delay_alu instid0(VALU_DEP_3) | instskip(NEXT) | instid1(VALU_DEP_3)
	v_fmac_f32_e32 v45, v27, v7
	v_fmac_f32_e32 v8, v28, v7
	s_delay_alu instid0(VALU_DEP_3) | instskip(SKIP_2) | instid1(VALU_DEP_2)
	v_div_fmas_f32 v37, v37, v39, v43
	s_mov_b32 vcc_lo, s2
	v_div_fmas_f32 v38, v38, v40, v44
	v_div_fixup_f32 v28, v37, v35, 1.0
	v_fmac_f32_e32 v12, v30, v11
	s_delay_alu instid0(VALU_DEP_3) | instskip(NEXT) | instid1(VALU_DEP_1)
	v_div_fixup_f32 v7, v38, v36, 1.0
	v_dual_mul_f32 v27, v7, v46 :: v_dual_mul_f32 v8, v8, v28
	s_waitcnt lgkmcnt(1)
	s_delay_alu instid0(VALU_DEP_1)
	v_mul_f32_e64 v29, v8, -v22
	v_mul_f32_e32 v30, v8, v21
	v_mul_f32_e32 v11, v28, v45
	;; [unrolled: 1-line block ×3, first 2 shown]
	v_mul_f32_e64 v12, v8, -v20
	v_mul_f32_e32 v28, v8, v19
	v_mul_f32_e32 v35, v8, v6
	v_mul_f32_e64 v8, v8, -v5
	v_fmac_f32_e32 v29, v21, v11
	v_fmac_f32_e32 v12, v19, v11
	s_delay_alu instid0(VALU_DEP_3) | instskip(NEXT) | instid1(VALU_DEP_2)
	v_fma_f32 v6, -v6, v11, v8
	v_sub_f32_e32 v8, v31, v12
	v_mul_f32_e64 v36, v7, -v10
	v_mul_f32_e32 v37, v7, v9
	s_waitcnt lgkmcnt(0)
	v_mul_f32_e64 v38, v7, -v26
	v_dual_mul_f32 v39, v7, v25 :: v_dual_fmac_f32 v28, v20, v11
	v_mul_f32_e32 v40, v7, v24
	v_fma_f32 v5, -v5, v11, v35
	v_fmac_f32_e32 v37, v10, v27
	v_fmac_f32_e32 v38, v25, v27
	;; [unrolled: 1-line block ×4, first 2 shown]
	v_dual_sub_f32 v10, v32, v28 :: v_dual_sub_f32 v11, v33, v29
	v_mul_f32_e64 v41, v7, -v23
	v_fmac_f32_e32 v39, v26, v27
	v_fma_f32 v7, -v23, v27, v40
	s_delay_alu instid0(VALU_DEP_4) | instskip(SKIP_2) | instid1(VALU_DEP_2)
	v_dual_sub_f32 v10, v10, v37 :: v_dual_sub_f32 v11, v11, v38
	v_dual_sub_f32 v9, v8, v36 :: v_dual_sub_f32 v12, v34, v30
	v_fma_f32 v8, -v24, v27, v41
	v_sub_f32_e32 v12, v12, v39
.LBB49_16:
	s_or_b32 exec_lo, exec_lo, s3
	s_barrier
	buffer_gl0_inv
	s_and_saveexec_b32 s2, s1
	s_cbranch_execz .LBB49_18
; %bb.17:
	ds_store_b64 v15, v[11:12]
	ds_store_b64 v16, v[5:6]
	;; [unrolled: 1-line block ×4, first 2 shown]
.LBB49_18:
	s_or_b32 exec_lo, exec_lo, s2
	s_waitcnt lgkmcnt(0)
	s_barrier
	buffer_gl0_inv
	s_and_saveexec_b32 s3, s1
	s_cbranch_execz .LBB49_20
; %bb.19:
	v_max_u32_e32 v5, 8, v0
	v_min_u32_e32 v6, 55, v0
	s_delay_alu instid0(VALU_DEP_2) | instskip(NEXT) | instid1(VALU_DEP_2)
	v_lshlrev_b32_e32 v5, 3, v5
	v_lshlrev_b32_e32 v6, 3, v6
	s_delay_alu instid0(VALU_DEP_2) | instskip(NEXT) | instid1(VALU_DEP_2)
	v_add_nc_u32_e32 v19, 0x1c0, v5
	v_add_nc_u32_e32 v23, 64, v6
	ds_load_2addr_stride64_b64 v[5:8], v19 offset0:19 offset1:20
	ds_load_2addr_stride64_b64 v[9:12], v23 offset0:20 offset1:21
	ds_load_b64 v[27:28], v16
	ds_load_b64 v[29:30], v17
	;; [unrolled: 1-line block ×4, first 2 shown]
	s_waitcnt lgkmcnt(5)
	v_mul_f32_e32 v35, v8, v8
	s_waitcnt lgkmcnt(4)
	v_mul_f32_e32 v36, v12, v12
	s_delay_alu instid0(VALU_DEP_1) | instskip(NEXT) | instid1(VALU_DEP_1)
	v_fmac_f32_e32 v36, v11, v11
	v_div_scale_f32 v38, null, v36, v36, 1.0
	v_div_scale_f32 v42, s2, 1.0, v36, 1.0
	s_delay_alu instid0(VALU_DEP_2) | instskip(SKIP_2) | instid1(VALU_DEP_1)
	v_rcp_f32_e32 v40, v38
	s_waitcnt_depctr 0xfff
	v_fma_f32 v21, -v38, v40, 1.0
	v_dual_fmac_f32 v40, v21, v40 :: v_dual_fmac_f32 v35, v7, v7
	s_delay_alu instid0(VALU_DEP_1) | instskip(NEXT) | instid1(VALU_DEP_2)
	v_mul_f32_e32 v44, v42, v40
	v_div_scale_f32 v37, null, v35, v35, 1.0
	v_div_scale_f32 v41, vcc_lo, 1.0, v35, 1.0
	s_delay_alu instid0(VALU_DEP_3) | instskip(NEXT) | instid1(VALU_DEP_3)
	v_fma_f32 v46, -v38, v44, v42
	v_rcp_f32_e32 v39, v37
	s_delay_alu instid0(VALU_DEP_1) | instskip(SKIP_3) | instid1(VALU_DEP_3)
	v_fmac_f32_e32 v44, v46, v40
	s_waitcnt lgkmcnt(2)
	v_mul_f32_e32 v46, v12, v30
	v_mul_f32_e64 v12, v12, -v29
	v_fma_f32 v38, -v38, v44, v42
	s_waitcnt_depctr 0xfff
	v_fma_f32 v20, -v37, v39, 1.0
	v_fmac_f32_e32 v46, v29, v11
	s_delay_alu instid0(VALU_DEP_2) | instskip(SKIP_3) | instid1(VALU_DEP_1)
	v_fmac_f32_e32 v39, v20, v39
	ds_load_2addr_stride64_b64 v[19:22], v19 offset0:21 offset1:23
	ds_load_2addr_stride64_b64 v[23:26], v23 offset0:22 offset1:24
	v_mul_f32_e32 v43, v41, v39
	v_fma_f32 v45, -v37, v43, v41
	s_delay_alu instid0(VALU_DEP_1) | instskip(SKIP_2) | instid1(VALU_DEP_3)
	v_fmac_f32_e32 v43, v45, v39
	v_mul_f32_e32 v45, v8, v28
	v_mul_f32_e64 v8, v8, -v27
	v_fma_f32 v37, -v37, v43, v41
	s_delay_alu instid0(VALU_DEP_3) | instskip(NEXT) | instid1(VALU_DEP_3)
	v_fmac_f32_e32 v45, v27, v7
	v_fmac_f32_e32 v8, v28, v7
	s_delay_alu instid0(VALU_DEP_3) | instskip(SKIP_2) | instid1(VALU_DEP_2)
	v_div_fmas_f32 v37, v37, v39, v43
	s_mov_b32 vcc_lo, s2
	v_div_fmas_f32 v38, v38, v40, v44
	v_div_fixup_f32 v28, v37, v35, 1.0
	v_fmac_f32_e32 v12, v30, v11
	s_delay_alu instid0(VALU_DEP_3) | instskip(NEXT) | instid1(VALU_DEP_1)
	v_div_fixup_f32 v7, v38, v36, 1.0
	v_dual_mul_f32 v27, v7, v46 :: v_dual_mul_f32 v8, v8, v28
	s_waitcnt lgkmcnt(1)
	s_delay_alu instid0(VALU_DEP_1)
	v_mul_f32_e64 v29, v8, -v22
	v_mul_f32_e32 v30, v8, v21
	v_mul_f32_e32 v11, v28, v45
	v_mul_f32_e32 v7, v12, v7
	v_mul_f32_e64 v12, v8, -v20
	v_mul_f32_e32 v28, v8, v19
	v_mul_f32_e32 v35, v8, v6
	v_mul_f32_e64 v8, v8, -v5
	v_fmac_f32_e32 v29, v21, v11
	v_fmac_f32_e32 v12, v19, v11
	s_delay_alu instid0(VALU_DEP_3) | instskip(NEXT) | instid1(VALU_DEP_2)
	v_fma_f32 v6, -v6, v11, v8
	v_sub_f32_e32 v8, v31, v12
	v_mul_f32_e64 v36, v7, -v10
	v_mul_f32_e32 v37, v7, v9
	s_waitcnt lgkmcnt(0)
	v_mul_f32_e64 v38, v7, -v26
	v_dual_mul_f32 v39, v7, v25 :: v_dual_fmac_f32 v28, v20, v11
	v_mul_f32_e32 v40, v7, v24
	v_fma_f32 v5, -v5, v11, v35
	v_fmac_f32_e32 v37, v10, v27
	v_fmac_f32_e32 v38, v25, v27
	;; [unrolled: 1-line block ×4, first 2 shown]
	v_dual_sub_f32 v10, v32, v28 :: v_dual_sub_f32 v11, v33, v29
	v_mul_f32_e64 v41, v7, -v23
	v_fmac_f32_e32 v39, v26, v27
	v_fma_f32 v7, -v23, v27, v40
	s_delay_alu instid0(VALU_DEP_4) | instskip(SKIP_2) | instid1(VALU_DEP_2)
	v_dual_sub_f32 v10, v10, v37 :: v_dual_sub_f32 v11, v11, v38
	v_dual_sub_f32 v9, v8, v36 :: v_dual_sub_f32 v12, v34, v30
	v_fma_f32 v8, -v24, v27, v41
	v_sub_f32_e32 v12, v12, v39
.LBB49_20:
	s_or_b32 exec_lo, exec_lo, s3
	s_barrier
	buffer_gl0_inv
	s_and_saveexec_b32 s2, s1
	s_cbranch_execz .LBB49_22
; %bb.21:
	ds_store_b64 v15, v[11:12]
	ds_store_b64 v16, v[5:6]
	;; [unrolled: 1-line block ×4, first 2 shown]
.LBB49_22:
	s_or_b32 exec_lo, exec_lo, s2
	s_waitcnt lgkmcnt(0)
	s_barrier
	buffer_gl0_inv
	s_and_saveexec_b32 s3, s1
	s_cbranch_execz .LBB49_24
; %bb.23:
	v_max_u32_e32 v5, 16, v0
	v_min_u32_e32 v6, 47, v0
	s_delay_alu instid0(VALU_DEP_2) | instskip(NEXT) | instid1(VALU_DEP_2)
	v_lshlrev_b32_e32 v5, 3, v5
	v_lshlrev_b32_e32 v6, 3, v6
	s_delay_alu instid0(VALU_DEP_2) | instskip(NEXT) | instid1(VALU_DEP_2)
	v_add_nc_u32_e32 v19, 0x180, v5
	v_add_nc_u32_e32 v23, 0x80, v6
	ds_load_2addr_stride64_b64 v[5:8], v19 offset0:19 offset1:20
	ds_load_2addr_stride64_b64 v[9:12], v23 offset0:20 offset1:21
	ds_load_b64 v[27:28], v16
	ds_load_b64 v[29:30], v17
	;; [unrolled: 1-line block ×4, first 2 shown]
	s_waitcnt lgkmcnt(5)
	v_mul_f32_e32 v35, v8, v8
	s_waitcnt lgkmcnt(4)
	v_mul_f32_e32 v36, v12, v12
	s_delay_alu instid0(VALU_DEP_1) | instskip(NEXT) | instid1(VALU_DEP_1)
	v_fmac_f32_e32 v36, v11, v11
	v_div_scale_f32 v38, null, v36, v36, 1.0
	v_div_scale_f32 v42, s2, 1.0, v36, 1.0
	s_delay_alu instid0(VALU_DEP_2) | instskip(SKIP_2) | instid1(VALU_DEP_1)
	v_rcp_f32_e32 v40, v38
	s_waitcnt_depctr 0xfff
	v_fma_f32 v21, -v38, v40, 1.0
	v_dual_fmac_f32 v40, v21, v40 :: v_dual_fmac_f32 v35, v7, v7
	s_delay_alu instid0(VALU_DEP_1) | instskip(NEXT) | instid1(VALU_DEP_2)
	v_mul_f32_e32 v44, v42, v40
	v_div_scale_f32 v37, null, v35, v35, 1.0
	v_div_scale_f32 v41, vcc_lo, 1.0, v35, 1.0
	s_delay_alu instid0(VALU_DEP_3) | instskip(NEXT) | instid1(VALU_DEP_3)
	v_fma_f32 v46, -v38, v44, v42
	v_rcp_f32_e32 v39, v37
	s_delay_alu instid0(VALU_DEP_1) | instskip(SKIP_3) | instid1(VALU_DEP_3)
	v_fmac_f32_e32 v44, v46, v40
	s_waitcnt lgkmcnt(2)
	v_mul_f32_e32 v46, v12, v30
	v_mul_f32_e64 v12, v12, -v29
	v_fma_f32 v38, -v38, v44, v42
	s_waitcnt_depctr 0xfff
	v_fma_f32 v20, -v37, v39, 1.0
	v_fmac_f32_e32 v46, v29, v11
	s_delay_alu instid0(VALU_DEP_2) | instskip(SKIP_3) | instid1(VALU_DEP_1)
	v_fmac_f32_e32 v39, v20, v39
	ds_load_2addr_stride64_b64 v[19:22], v19 offset0:21 offset1:23
	ds_load_2addr_stride64_b64 v[23:26], v23 offset0:22 offset1:24
	v_mul_f32_e32 v43, v41, v39
	v_fma_f32 v45, -v37, v43, v41
	s_delay_alu instid0(VALU_DEP_1) | instskip(SKIP_2) | instid1(VALU_DEP_3)
	v_fmac_f32_e32 v43, v45, v39
	v_mul_f32_e32 v45, v8, v28
	v_mul_f32_e64 v8, v8, -v27
	v_fma_f32 v37, -v37, v43, v41
	s_delay_alu instid0(VALU_DEP_3) | instskip(NEXT) | instid1(VALU_DEP_3)
	v_fmac_f32_e32 v45, v27, v7
	v_fmac_f32_e32 v8, v28, v7
	s_delay_alu instid0(VALU_DEP_3) | instskip(SKIP_2) | instid1(VALU_DEP_2)
	v_div_fmas_f32 v37, v37, v39, v43
	s_mov_b32 vcc_lo, s2
	v_div_fmas_f32 v38, v38, v40, v44
	v_div_fixup_f32 v28, v37, v35, 1.0
	v_fmac_f32_e32 v12, v30, v11
	s_delay_alu instid0(VALU_DEP_3) | instskip(NEXT) | instid1(VALU_DEP_1)
	v_div_fixup_f32 v7, v38, v36, 1.0
	v_dual_mul_f32 v27, v7, v46 :: v_dual_mul_f32 v8, v8, v28
	s_waitcnt lgkmcnt(1)
	s_delay_alu instid0(VALU_DEP_1)
	v_mul_f32_e64 v29, v8, -v22
	v_mul_f32_e32 v30, v8, v21
	v_mul_f32_e32 v11, v28, v45
	;; [unrolled: 1-line block ×3, first 2 shown]
	v_mul_f32_e64 v12, v8, -v20
	v_mul_f32_e32 v28, v8, v19
	v_mul_f32_e32 v35, v8, v6
	v_mul_f32_e64 v8, v8, -v5
	v_fmac_f32_e32 v29, v21, v11
	v_fmac_f32_e32 v12, v19, v11
	s_delay_alu instid0(VALU_DEP_3) | instskip(NEXT) | instid1(VALU_DEP_2)
	v_fma_f32 v6, -v6, v11, v8
	v_sub_f32_e32 v8, v31, v12
	v_mul_f32_e64 v36, v7, -v10
	v_mul_f32_e32 v37, v7, v9
	s_waitcnt lgkmcnt(0)
	v_mul_f32_e64 v38, v7, -v26
	v_dual_mul_f32 v39, v7, v25 :: v_dual_fmac_f32 v28, v20, v11
	v_mul_f32_e32 v40, v7, v24
	v_fma_f32 v5, -v5, v11, v35
	v_fmac_f32_e32 v37, v10, v27
	v_fmac_f32_e32 v38, v25, v27
	;; [unrolled: 1-line block ×4, first 2 shown]
	v_dual_sub_f32 v10, v32, v28 :: v_dual_sub_f32 v11, v33, v29
	v_mul_f32_e64 v41, v7, -v23
	v_fmac_f32_e32 v39, v26, v27
	v_fma_f32 v7, -v23, v27, v40
	s_delay_alu instid0(VALU_DEP_4) | instskip(SKIP_2) | instid1(VALU_DEP_2)
	v_dual_sub_f32 v10, v10, v37 :: v_dual_sub_f32 v11, v11, v38
	v_dual_sub_f32 v9, v8, v36 :: v_dual_sub_f32 v12, v34, v30
	v_fma_f32 v8, -v24, v27, v41
	v_sub_f32_e32 v12, v12, v39
.LBB49_24:
	s_or_b32 exec_lo, exec_lo, s3
	s_barrier
	buffer_gl0_inv
	s_and_saveexec_b32 s2, s1
	s_cbranch_execz .LBB49_26
; %bb.25:
	ds_store_b64 v15, v[11:12]
	ds_store_b64 v16, v[5:6]
	;; [unrolled: 1-line block ×4, first 2 shown]
.LBB49_26:
	s_or_b32 exec_lo, exec_lo, s2
	s_delay_alu instid0(SALU_CYCLE_1)
	s_mov_b32 s2, exec_lo
	s_waitcnt lgkmcnt(0)
	s_barrier
	buffer_gl0_inv
	v_cmpx_gt_u32_e32 32, v0
	s_cbranch_execz .LBB49_28
; %bb.27:
	ds_load_2addr_b64 v[5:8], v18 offset1:32
	ds_load_b64 v[17:18], v17
	ds_load_b64 v[19:20], v16 offset:256
	s_waitcnt lgkmcnt(2)
	v_mul_f32_e32 v9, v6, v7
	v_mul_f32_e64 v11, v6, -v8
	s_waitcnt lgkmcnt(0)
	v_mul_f32_e32 v10, v20, v17
	v_mul_f32_e64 v12, v20, -v18
	v_fmac_f32_e32 v9, v8, v5
	s_delay_alu instid0(VALU_DEP_3) | instskip(NEXT) | instid1(VALU_DEP_3)
	v_dual_fmac_f32 v11, v7, v5 :: v_dual_fmac_f32 v10, v18, v19
	v_fmac_f32_e32 v12, v17, v19
	s_delay_alu instid0(VALU_DEP_1)
	v_dual_sub_f32 v16, v9, v10 :: v_dual_sub_f32 v21, v11, v12
	ds_load_2addr_b64 v[9:12], v15 offset1:32
	s_waitcnt lgkmcnt(0)
	v_mul_f32_e64 v29, v12, -v18
	v_mul_f32_e32 v22, v16, v16
	v_mul_f32_e64 v26, v10, -v8
	v_mul_f32_e64 v31, v6, -v12
	v_mul_f32_e32 v6, v6, v11
	v_fmac_f32_e32 v29, v17, v11
	v_fmac_f32_e32 v22, v21, v21
	s_delay_alu instid0(VALU_DEP_4) | instskip(NEXT) | instid1(VALU_DEP_4)
	v_dual_mul_f32 v28, v10, v7 :: v_dual_fmac_f32 v31, v11, v5
	v_fmac_f32_e32 v6, v12, v5
	v_fma_f32 v5, v21, 0, -v16
	s_delay_alu instid0(VALU_DEP_4) | instskip(SKIP_2) | instid1(VALU_DEP_3)
	v_div_scale_f32 v23, null, v22, v22, 1.0
	v_div_scale_f32 v25, vcc_lo, 1.0, v22, 1.0
	v_fmac_f32_e32 v28, v8, v9
	v_rcp_f32_e32 v24, v23
	v_fmac_f32_e32 v26, v7, v9
	v_fma_f32 v8, 0, v16, v21
	s_waitcnt_depctr 0xfff
	v_fma_f32 v15, -v23, v24, 1.0
	s_delay_alu instid0(VALU_DEP_1) | instskip(NEXT) | instid1(VALU_DEP_1)
	v_fmac_f32_e32 v24, v15, v24
	v_mul_f32_e32 v15, v25, v24
	s_delay_alu instid0(VALU_DEP_1) | instskip(NEXT) | instid1(VALU_DEP_1)
	v_fma_f32 v27, -v23, v15, v25
	v_fmac_f32_e32 v15, v27, v24
	v_mul_f32_e64 v27, v20, -v10
	s_delay_alu instid0(VALU_DEP_2) | instskip(NEXT) | instid1(VALU_DEP_2)
	v_fma_f32 v7, -v23, v15, v25
	v_dual_fmac_f32 v27, v9, v19 :: v_dual_mul_f32 v30, v12, v17
	s_delay_alu instid0(VALU_DEP_2) | instskip(NEXT) | instid1(VALU_DEP_2)
	v_div_fmas_f32 v7, v7, v24, v15
	v_sub_f32_e32 v15, v31, v27
	s_delay_alu instid0(VALU_DEP_3) | instskip(NEXT) | instid1(VALU_DEP_3)
	v_fmac_f32_e32 v30, v18, v11
	v_div_fixup_f32 v7, v7, v22, 1.0
	s_delay_alu instid0(VALU_DEP_1) | instskip(SKIP_1) | instid1(VALU_DEP_1)
	v_dual_sub_f32 v11, v26, v29 :: v_dual_mul_f32 v16, v8, v7
	v_mul_f32_e32 v20, v20, v9
	v_fmac_f32_e32 v20, v10, v19
	v_mul_f32_e32 v10, v5, v7
	s_delay_alu instid0(VALU_DEP_2) | instskip(NEXT) | instid1(VALU_DEP_2)
	v_sub_f32_e32 v12, v6, v20
	v_mul_f32_e32 v6, v11, v10
	v_mul_f32_e32 v8, v10, v15
	s_delay_alu instid0(VALU_DEP_3) | instskip(NEXT) | instid1(VALU_DEP_2)
	v_mul_f32_e64 v7, v10, -v12
	v_fmac_f32_e32 v8, v12, v16
	s_delay_alu instid0(VALU_DEP_2) | instskip(SKIP_1) | instid1(VALU_DEP_1)
	v_fmac_f32_e32 v7, v15, v16
	v_sub_f32_e32 v9, v28, v30
	v_mul_f32_e64 v5, v10, -v9
	v_dual_fmac_f32 v6, v9, v16 :: v_dual_add_nc_u32 v9, 0x2800, v13
	s_delay_alu instid0(VALU_DEP_2)
	v_fmac_f32_e32 v5, v11, v16
	ds_store_2addr_b64 v9, v[5:6], v[7:8] offset0:192 offset1:224
.LBB49_28:
	s_or_b32 exec_lo, exec_lo, s2
	s_waitcnt lgkmcnt(0)
	s_barrier
	buffer_gl0_inv
	s_and_saveexec_b32 s2, s1
	s_cbranch_execz .LBB49_30
; %bb.29:
	ds_load_b64 v[5:6], v13 offset:11776
	s_waitcnt lgkmcnt(0)
	ds_store_b64 v14, v[5:6] offset:6136
.LBB49_30:
	s_or_b32 exec_lo, exec_lo, s2
	s_waitcnt lgkmcnt(0)
	s_barrier
	buffer_gl0_inv
	s_and_saveexec_b32 s2, s1
	s_cbranch_execz .LBB49_36
; %bb.31:
	v_lshlrev_b32_e32 v5, 2, v0
	s_mov_b32 s1, exec_lo
                                        ; implicit-def: $vgpr6
	s_delay_alu instid0(VALU_DEP_1)
	v_lshlrev_b32_e32 v7, 3, v5
	v_cmpx_ne_u32_e32 0, v0
	s_xor_b32 s1, exec_lo, s1
	s_cbranch_execz .LBB49_33
; %bb.32:
	s_delay_alu instid0(VALU_DEP_2)
	v_add_nc_u32_e32 v5, 8, v7
	v_add_nc_u32_e32 v6, 0x1000, v7
	;; [unrolled: 1-line block ×3, first 2 shown]
	ds_load_2addr_stride64_b64 v[8:11], v5 offset1:4
	ds_load_2addr_b64 v[14:17], v6 offset0:1 offset1:255
	ds_load_2addr_b64 v[18:21], v18 offset0:1 offset1:255
	s_waitcnt lgkmcnt(2)
	v_mul_f32_e32 v5, v11, v11
	s_waitcnt lgkmcnt(0)
	v_mul_f32_e32 v25, v19, v14
	s_delay_alu instid0(VALU_DEP_2) | instskip(NEXT) | instid1(VALU_DEP_2)
	v_fmac_f32_e32 v5, v10, v10
	v_fmac_f32_e32 v25, v15, v18
	s_delay_alu instid0(VALU_DEP_2) | instskip(SKIP_1) | instid1(VALU_DEP_2)
	v_div_scale_f32 v12, null, v5, v5, 1.0
	v_div_scale_f32 v23, vcc_lo, 1.0, v5, 1.0
	v_rcp_f32_e32 v6, v12
	s_waitcnt_depctr 0xfff
	v_fma_f32 v22, -v12, v6, 1.0
	s_delay_alu instid0(VALU_DEP_1) | instskip(SKIP_2) | instid1(VALU_DEP_3)
	v_fmac_f32_e32 v6, v22, v6
	v_mul_f32_e32 v22, v17, v8
	v_mul_f32_e64 v17, v17, -v9
	v_mul_f32_e32 v24, v23, v6
	s_delay_alu instid0(VALU_DEP_3) | instskip(SKIP_1) | instid1(VALU_DEP_4)
	v_fmac_f32_e32 v22, v9, v16
	v_mul_f32_e64 v9, v19, -v15
	v_fmac_f32_e32 v17, v8, v16
	s_delay_alu instid0(VALU_DEP_4) | instskip(NEXT) | instid1(VALU_DEP_4)
	v_fma_f32 v8, -v12, v24, v23
	v_sub_f32_e32 v15, v21, v22
	s_delay_alu instid0(VALU_DEP_2) | instskip(NEXT) | instid1(VALU_DEP_4)
	v_fmac_f32_e32 v24, v8, v6
	v_dual_sub_f32 v8, v20, v17 :: v_dual_fmac_f32 v9, v14, v18
	s_delay_alu instid0(VALU_DEP_3) | instskip(NEXT) | instid1(VALU_DEP_3)
	v_sub_f32_e32 v14, v15, v25
	v_fma_f32 v12, -v12, v24, v23
	s_delay_alu instid0(VALU_DEP_2) | instskip(NEXT) | instid1(VALU_DEP_2)
	v_dual_sub_f32 v8, v8, v9 :: v_dual_mul_f32 v9, v11, v14
	v_div_fmas_f32 v6, v12, v6, v24
	s_delay_alu instid0(VALU_DEP_2) | instskip(NEXT) | instid1(VALU_DEP_2)
	v_mul_f32_e64 v11, v11, -v8
	v_div_fixup_f32 v6, v6, v5, 1.0
	s_delay_alu instid0(VALU_DEP_2) | instskip(SKIP_1) | instid1(VALU_DEP_1)
	v_fmac_f32_e32 v11, v14, v10
	v_fmac_f32_e32 v9, v8, v10
	v_mul_f32_e32 v5, v6, v9
	s_delay_alu instid0(VALU_DEP_3)
	v_mul_f32_e32 v6, v6, v11
.LBB49_33:
	s_and_not1_saveexec_b32 s1, s1
	s_cbranch_execz .LBB49_35
; %bb.34:
	v_add_nc_u32_e32 v5, 8, v7
	v_add_nc_u32_e32 v12, 0x1810, v7
	ds_load_2addr_stride64_b64 v[8:11], v5 offset0:4 offset1:8
	ds_load_2addr_b64 v[14:17], v12 offset0:1 offset1:255
	s_waitcnt lgkmcnt(0)
	v_dual_mul_f32 v5, v9, v9 :: v_dual_mul_f32 v20, v15, v10
	v_mul_f32_e64 v15, v15, -v11
	s_delay_alu instid0(VALU_DEP_2) | instskip(NEXT) | instid1(VALU_DEP_2)
	v_dual_fmac_f32 v5, v8, v8 :: v_dual_fmac_f32 v20, v11, v14
	v_fmac_f32_e32 v15, v10, v14
	s_delay_alu instid0(VALU_DEP_2) | instskip(NEXT) | instid1(VALU_DEP_3)
	v_div_scale_f32 v6, null, v5, v5, 1.0
	v_sub_f32_e32 v10, v17, v20
	v_div_scale_f32 v19, vcc_lo, 1.0, v5, 1.0
	s_delay_alu instid0(VALU_DEP_3) | instskip(NEXT) | instid1(VALU_DEP_2)
	v_rcp_f32_e32 v18, v6
	v_dual_sub_f32 v11, v16, v15 :: v_dual_mul_f32 v14, v9, v10
	s_delay_alu instid0(VALU_DEP_1) | instskip(NEXT) | instid1(VALU_DEP_2)
	v_mul_f32_e64 v9, v9, -v11
	v_fmac_f32_e32 v14, v11, v8
	s_waitcnt_depctr 0xfff
	v_fma_f32 v12, -v6, v18, 1.0
	s_delay_alu instid0(VALU_DEP_1) | instskip(NEXT) | instid1(VALU_DEP_1)
	v_dual_fmac_f32 v9, v10, v8 :: v_dual_fmac_f32 v18, v12, v18
	v_mul_f32_e32 v12, v19, v18
	s_delay_alu instid0(VALU_DEP_1) | instskip(NEXT) | instid1(VALU_DEP_1)
	v_fma_f32 v21, -v6, v12, v19
	v_fmac_f32_e32 v12, v21, v18
	s_delay_alu instid0(VALU_DEP_1) | instskip(NEXT) | instid1(VALU_DEP_1)
	v_fma_f32 v6, -v6, v12, v19
	v_div_fmas_f32 v6, v6, v18, v12
	s_delay_alu instid0(VALU_DEP_1) | instskip(NEXT) | instid1(VALU_DEP_1)
	v_div_fixup_f32 v6, v6, v5, 1.0
	v_mul_f32_e32 v5, v6, v14
	v_mul_f32_e32 v6, v9, v6
.LBB49_35:
	s_or_b32 exec_lo, exec_lo, s1
	ds_store_b64 v7, v[5:6] offset:6152
.LBB49_36:
	s_or_b32 exec_lo, exec_lo, s2
	s_waitcnt lgkmcnt(0)
	s_barrier
	buffer_gl0_inv
	s_and_saveexec_b32 s1, s0
	s_cbranch_execz .LBB49_42
; %bb.37:
	v_lshlrev_b32_e32 v5, 1, v0
	v_cmp_ne_u32_e32 vcc_lo, 0, v0
                                        ; implicit-def: $vgpr6
	s_delay_alu instid0(VALU_DEP_2) | instskip(SKIP_1) | instid1(SALU_CYCLE_1)
	v_lshlrev_b32_e32 v0, 3, v5
	s_and_saveexec_b32 s0, vcc_lo
	s_xor_b32 s0, exec_lo, s0
	s_cbranch_execz .LBB49_39
; %bb.38:
	ds_load_2addr_stride64_b64 v[5:8], v0 offset1:4
	v_add_nc_u32_e32 v9, 0x1000, v0
	v_add_nc_u32_e32 v14, 0x1808, v0
	ds_load_2addr_b64 v[9:12], v9 offset1:255
	ds_load_2addr_b64 v[14:17], v14 offset1:255
	s_waitcnt lgkmcnt(2)
	v_mul_f32_e32 v18, v8, v8
	s_delay_alu instid0(VALU_DEP_1) | instskip(SKIP_2) | instid1(VALU_DEP_2)
	v_fmac_f32_e32 v18, v7, v7
	s_waitcnt lgkmcnt(0)
	v_mul_f32_e32 v24, v15, v9
	v_div_scale_f32 v19, null, v18, v18, 1.0
	s_delay_alu instid0(VALU_DEP_1) | instskip(SKIP_2) | instid1(VALU_DEP_1)
	v_rcp_f32_e32 v20, v19
	s_waitcnt_depctr 0xfff
	v_fma_f32 v21, -v19, v20, 1.0
	v_dual_fmac_f32 v20, v21, v20 :: v_dual_mul_f32 v21, v12, v5
	v_div_scale_f32 v22, vcc_lo, 1.0, v18, 1.0
	v_mul_f32_e64 v12, v12, -v6
	s_delay_alu instid0(VALU_DEP_3) | instskip(NEXT) | instid1(VALU_DEP_3)
	v_fmac_f32_e32 v21, v6, v11
	v_mul_f32_e32 v23, v22, v20
	v_mul_f32_e64 v6, v15, -v10
	s_delay_alu instid0(VALU_DEP_4) | instskip(NEXT) | instid1(VALU_DEP_3)
	v_fmac_f32_e32 v12, v5, v11
	v_fma_f32 v5, -v19, v23, v22
	v_fmac_f32_e32 v24, v10, v14
	v_sub_f32_e32 v10, v17, v21
	s_delay_alu instid0(VALU_DEP_3) | instskip(SKIP_1) | instid1(VALU_DEP_3)
	v_fmac_f32_e32 v23, v5, v20
	v_dual_sub_f32 v5, v16, v12 :: v_dual_fmac_f32 v6, v9, v14
	v_sub_f32_e32 v9, v10, v24
	s_delay_alu instid0(VALU_DEP_3) | instskip(NEXT) | instid1(VALU_DEP_2)
	v_fma_f32 v10, -v19, v23, v22
	v_dual_sub_f32 v5, v5, v6 :: v_dual_mul_f32 v6, v8, v9
	s_delay_alu instid0(VALU_DEP_2) | instskip(NEXT) | instid1(VALU_DEP_2)
	v_div_fmas_f32 v10, v10, v20, v23
	v_mul_f32_e64 v8, v8, -v5
	s_delay_alu instid0(VALU_DEP_3) | instskip(NEXT) | instid1(VALU_DEP_3)
	v_fmac_f32_e32 v6, v5, v7
	v_div_fixup_f32 v10, v10, v18, 1.0
	s_delay_alu instid0(VALU_DEP_1) | instskip(NEXT) | instid1(VALU_DEP_1)
	v_dual_fmac_f32 v8, v9, v7 :: v_dual_mul_f32 v5, v10, v6
	v_mul_f32_e32 v6, v10, v8
.LBB49_39:
	s_and_not1_saveexec_b32 s0, s0
	s_cbranch_execz .LBB49_41
; %bb.40:
	ds_load_2addr_stride64_b64 v[5:8], v0 offset0:4 offset1:8
	v_add_nc_u32_e32 v9, 0x1808, v0
	ds_load_2addr_b64 v[9:12], v9 offset1:255
	s_waitcnt lgkmcnt(1)
	v_mul_f32_e32 v14, v6, v6
	s_waitcnt lgkmcnt(0)
	s_delay_alu instid0(VALU_DEP_1) | instskip(SKIP_1) | instid1(VALU_DEP_2)
	v_dual_fmac_f32 v14, v5, v5 :: v_dual_mul_f32 v19, v10, v7
	v_mul_f32_e64 v10, v10, -v8
	v_div_scale_f32 v15, null, v14, v14, 1.0
	v_div_scale_f32 v18, vcc_lo, 1.0, v14, 1.0
	s_delay_alu instid0(VALU_DEP_4) | instskip(NEXT) | instid1(VALU_DEP_3)
	v_fmac_f32_e32 v19, v8, v9
	v_rcp_f32_e32 v16, v15
	v_fmac_f32_e32 v10, v7, v9
	s_waitcnt_depctr 0xfff
	v_fma_f32 v17, -v15, v16, 1.0
	s_delay_alu instid0(VALU_DEP_1) | instskip(NEXT) | instid1(VALU_DEP_1)
	v_fmac_f32_e32 v16, v17, v16
	v_mul_f32_e32 v17, v18, v16
	s_delay_alu instid0(VALU_DEP_1) | instskip(NEXT) | instid1(VALU_DEP_1)
	v_fma_f32 v20, -v15, v17, v18
	v_fmac_f32_e32 v17, v20, v16
	s_delay_alu instid0(VALU_DEP_1) | instskip(NEXT) | instid1(VALU_DEP_1)
	v_fma_f32 v8, -v15, v17, v18
	v_div_fmas_f32 v8, v8, v16, v17
	s_delay_alu instid0(VALU_DEP_1) | instskip(SKIP_2) | instid1(VALU_DEP_1)
	v_div_fixup_f32 v8, v8, v14, 1.0
	v_sub_f32_e32 v9, v11, v10
	v_sub_f32_e32 v7, v12, v19
	v_mul_f32_e32 v10, v6, v7
	s_delay_alu instid0(VALU_DEP_3) | instskip(NEXT) | instid1(VALU_DEP_2)
	v_mul_f32_e64 v6, v6, -v9
	v_fmac_f32_e32 v10, v9, v5
	s_delay_alu instid0(VALU_DEP_1) | instskip(NEXT) | instid1(VALU_DEP_1)
	v_dual_fmac_f32 v6, v7, v5 :: v_dual_mul_f32 v5, v8, v10
	v_mul_f32_e32 v6, v6, v8
.LBB49_41:
	s_or_b32 exec_lo, exec_lo, s0
	ds_store_b64 v0, v[5:6] offset:6144
.LBB49_42:
	s_or_b32 exec_lo, exec_lo, s1
	s_waitcnt lgkmcnt(0)
	s_barrier
	buffer_gl0_inv
	ds_load_2addr_stride64_b64 v[5:8], v13 offset0:12 offset1:14
	s_waitcnt lgkmcnt(0)
	s_clause 0x1
	global_store_b64 v[1:2], v[5:6], off
	global_store_b64 v[3:4], v[7:8], off
	s_nop 0
	s_sendmsg sendmsg(MSG_DEALLOC_VGPRS)
	s_endpgm
	.section	.rodata,"a",@progbits
	.p2align	6, 0x0
	.amdhsa_kernel _ZN9rocsparseL51gtsv_nopivot_strided_batch_crpcr_pow2_shared_kernelILj128ELj64E21rocsparse_complex_numIfEEEviiiPKT1_S5_S5_PS3_
		.amdhsa_group_segment_fixed_size 12800
		.amdhsa_private_segment_fixed_size 0
		.amdhsa_kernarg_size 48
		.amdhsa_user_sgpr_count 15
		.amdhsa_user_sgpr_dispatch_ptr 0
		.amdhsa_user_sgpr_queue_ptr 0
		.amdhsa_user_sgpr_kernarg_segment_ptr 1
		.amdhsa_user_sgpr_dispatch_id 0
		.amdhsa_user_sgpr_private_segment_size 0
		.amdhsa_wavefront_size32 1
		.amdhsa_uses_dynamic_stack 0
		.amdhsa_enable_private_segment 0
		.amdhsa_system_sgpr_workgroup_id_x 1
		.amdhsa_system_sgpr_workgroup_id_y 0
		.amdhsa_system_sgpr_workgroup_id_z 0
		.amdhsa_system_sgpr_workgroup_info 0
		.amdhsa_system_vgpr_workitem_id 0
		.amdhsa_next_free_vgpr 47
		.amdhsa_next_free_sgpr 16
		.amdhsa_reserve_vcc 1
		.amdhsa_float_round_mode_32 0
		.amdhsa_float_round_mode_16_64 0
		.amdhsa_float_denorm_mode_32 3
		.amdhsa_float_denorm_mode_16_64 3
		.amdhsa_dx10_clamp 1
		.amdhsa_ieee_mode 1
		.amdhsa_fp16_overflow 0
		.amdhsa_workgroup_processor_mode 1
		.amdhsa_memory_ordered 1
		.amdhsa_forward_progress 0
		.amdhsa_shared_vgpr_count 0
		.amdhsa_exception_fp_ieee_invalid_op 0
		.amdhsa_exception_fp_denorm_src 0
		.amdhsa_exception_fp_ieee_div_zero 0
		.amdhsa_exception_fp_ieee_overflow 0
		.amdhsa_exception_fp_ieee_underflow 0
		.amdhsa_exception_fp_ieee_inexact 0
		.amdhsa_exception_int_div_zero 0
	.end_amdhsa_kernel
	.section	.text._ZN9rocsparseL51gtsv_nopivot_strided_batch_crpcr_pow2_shared_kernelILj128ELj64E21rocsparse_complex_numIfEEEviiiPKT1_S5_S5_PS3_,"axG",@progbits,_ZN9rocsparseL51gtsv_nopivot_strided_batch_crpcr_pow2_shared_kernelILj128ELj64E21rocsparse_complex_numIfEEEviiiPKT1_S5_S5_PS3_,comdat
.Lfunc_end49:
	.size	_ZN9rocsparseL51gtsv_nopivot_strided_batch_crpcr_pow2_shared_kernelILj128ELj64E21rocsparse_complex_numIfEEEviiiPKT1_S5_S5_PS3_, .Lfunc_end49-_ZN9rocsparseL51gtsv_nopivot_strided_batch_crpcr_pow2_shared_kernelILj128ELj64E21rocsparse_complex_numIfEEEviiiPKT1_S5_S5_PS3_
                                        ; -- End function
	.section	.AMDGPU.csdata,"",@progbits
; Kernel info:
; codeLenInByte = 6592
; NumSgprs: 18
; NumVgprs: 47
; ScratchSize: 0
; MemoryBound: 0
; FloatMode: 240
; IeeeMode: 1
; LDSByteSize: 12800 bytes/workgroup (compile time only)
; SGPRBlocks: 2
; VGPRBlocks: 5
; NumSGPRsForWavesPerEU: 18
; NumVGPRsForWavesPerEU: 47
; Occupancy: 10
; WaveLimiterHint : 0
; COMPUTE_PGM_RSRC2:SCRATCH_EN: 0
; COMPUTE_PGM_RSRC2:USER_SGPR: 15
; COMPUTE_PGM_RSRC2:TRAP_HANDLER: 0
; COMPUTE_PGM_RSRC2:TGID_X_EN: 1
; COMPUTE_PGM_RSRC2:TGID_Y_EN: 0
; COMPUTE_PGM_RSRC2:TGID_Z_EN: 0
; COMPUTE_PGM_RSRC2:TIDIG_COMP_CNT: 0
	.section	.text._ZN9rocsparseL51gtsv_nopivot_strided_batch_crpcr_pow2_shared_kernelILj256ELj64E21rocsparse_complex_numIfEEEviiiPKT1_S5_S5_PS3_,"axG",@progbits,_ZN9rocsparseL51gtsv_nopivot_strided_batch_crpcr_pow2_shared_kernelILj256ELj64E21rocsparse_complex_numIfEEEviiiPKT1_S5_S5_PS3_,comdat
	.globl	_ZN9rocsparseL51gtsv_nopivot_strided_batch_crpcr_pow2_shared_kernelILj256ELj64E21rocsparse_complex_numIfEEEviiiPKT1_S5_S5_PS3_ ; -- Begin function _ZN9rocsparseL51gtsv_nopivot_strided_batch_crpcr_pow2_shared_kernelILj256ELj64E21rocsparse_complex_numIfEEEviiiPKT1_S5_S5_PS3_
	.p2align	8
	.type	_ZN9rocsparseL51gtsv_nopivot_strided_batch_crpcr_pow2_shared_kernelILj256ELj64E21rocsparse_complex_numIfEEEviiiPKT1_S5_S5_PS3_,@function
_ZN9rocsparseL51gtsv_nopivot_strided_batch_crpcr_pow2_shared_kernelILj256ELj64E21rocsparse_complex_numIfEEEviiiPKT1_S5_S5_PS3_: ; @_ZN9rocsparseL51gtsv_nopivot_strided_batch_crpcr_pow2_shared_kernelILj256ELj64E21rocsparse_complex_numIfEEEviiiPKT1_S5_S5_PS3_
; %bb.0:
	s_clause 0x1
	s_load_b32 s8, s[0:1], 0x8
	s_load_b256 s[0:7], s[0:1], 0x10
	s_waitcnt lgkmcnt(0)
	v_mad_u64_u32 v[1:2], null, s15, s8, v[0:1]
	s_delay_alu instid0(VALU_DEP_1) | instskip(SKIP_1) | instid1(VALU_DEP_2)
	v_dual_mov_b32 v4, 0 :: v_dual_add_nc_u32 v3, 0x100, v1
	v_ashrrev_i32_e32 v2, 31, v1
	v_lshlrev_b64 v[3:4], 3, v[3:4]
	s_delay_alu instid0(VALU_DEP_2) | instskip(NEXT) | instid1(VALU_DEP_1)
	v_lshlrev_b64 v[1:2], 3, v[1:2]
	v_add_co_u32 v5, vcc_lo, s0, v1
	s_delay_alu instid0(VALU_DEP_2) | instskip(NEXT) | instid1(VALU_DEP_4)
	v_add_co_ci_u32_e32 v6, vcc_lo, s1, v2, vcc_lo
	v_add_co_u32 v7, vcc_lo, s0, v3
	v_add_co_ci_u32_e32 v8, vcc_lo, s1, v4, vcc_lo
	v_add_co_u32 v9, vcc_lo, s2, v1
	;; [unrolled: 2-line block ×7, first 2 shown]
	v_add_co_ci_u32_e32 v4, vcc_lo, s7, v4, vcc_lo
	s_clause 0x1
	global_load_b64 v[17:18], v[5:6], off
	global_load_b64 v[7:8], v[7:8], off
	s_clause 0x1
	global_load_b64 v[9:10], v[9:10], off
	global_load_b64 v[11:12], v[11:12], off
	;; [unrolled: 3-line block ×4, first 2 shown]
	v_lshlrev_b32_e32 v13, 3, v0
	v_add_nc_u32_e32 v6, 1, v0
	v_cmp_gt_u32_e64 s0, 0x100, v0
	s_waitcnt vmcnt(6)
	ds_store_2addr_stride64_b64 v13, v[17:18], v[7:8] offset1:4
	s_waitcnt vmcnt(4)
	ds_store_2addr_stride64_b64 v13, v[9:10], v[11:12] offset0:8 offset1:12
	s_waitcnt vmcnt(2)
	ds_store_2addr_stride64_b64 v13, v[19:20], v[14:15] offset0:16 offset1:20
	;; [unrolled: 2-line block ×3, first 2 shown]
	s_waitcnt lgkmcnt(0)
	s_barrier
	buffer_gl0_inv
	s_and_saveexec_b32 s2, s0
	s_cbranch_execz .LBB50_2
; %bb.1:
	v_lshlrev_b32_e32 v5, 1, v6
	v_lshlrev_b32_e32 v32, 4, v6
	s_delay_alu instid0(VALU_DEP_2) | instskip(NEXT) | instid1(VALU_DEP_2)
	v_min_u32_e32 v5, 0x1ff, v5
	v_add_nc_u32_e32 v7, 0x800, v32
	s_delay_alu instid0(VALU_DEP_2) | instskip(SKIP_4) | instid1(VALU_DEP_1)
	v_lshlrev_b32_e32 v5, 3, v5
	ds_load_2addr_b64 v[7:10], v7 offset0:254 offset1:255
	ds_load_2addr_stride64_b64 v[14:17], v5 offset1:8
	s_waitcnt lgkmcnt(0)
	v_dual_mul_f32 v33, v8, v8 :: v_dual_mul_f32 v34, v17, v17
	v_dual_fmac_f32 v33, v7, v7 :: v_dual_add_nc_u32 v26, -16, v32
	s_delay_alu instid0(VALU_DEP_2) | instskip(SKIP_4) | instid1(VALU_DEP_3)
	v_fmac_f32_e32 v34, v16, v16
	ds_load_b64 v[30:31], v26
	v_div_scale_f32 v35, null, v33, v33, 1.0
	v_div_scale_f32 v40, vcc_lo, 1.0, v33, 1.0
	v_div_scale_f32 v36, null, v34, v34, 1.0
	v_rcp_f32_e32 v37, v35
	v_div_scale_f32 v41, s1, 1.0, v34, 1.0
	s_delay_alu instid0(VALU_DEP_2) | instskip(SKIP_3) | instid1(VALU_DEP_2)
	v_rcp_f32_e32 v38, v36
	s_waitcnt_depctr 0xfff
	v_fma_f32 v18, -v35, v37, 1.0
	v_fma_f32 v22, -v36, v38, 1.0
	v_fmac_f32_e32 v37, v18, v37
	ds_load_b128 v[18:21], v32 offset:8176
	v_fmac_f32_e32 v38, v22, v38
	ds_load_b128 v[22:25], v32 offset:16368
	v_mul_f32_e32 v42, v40, v37
	s_delay_alu instid0(VALU_DEP_1) | instskip(NEXT) | instid1(VALU_DEP_1)
	v_fma_f32 v27, -v35, v42, v40
	v_dual_fmac_f32 v42, v27, v37 :: v_dual_add_nc_u32 v39, -8, v32
	ds_load_b64 v[11:12], v39
	ds_load_2addr_stride64_b64 v[26:29], v5 offset0:16 offset1:32
	s_waitcnt lgkmcnt(1)
	v_mul_f32_e64 v45, v8, -v11
	v_mul_f32_e32 v5, v8, v12
	v_fma_f32 v8, -v35, v42, v40
	s_delay_alu instid0(VALU_DEP_3) | instskip(SKIP_2) | instid1(VALU_DEP_4)
	v_dual_fmac_f32 v45, v12, v7 :: v_dual_mul_f32 v12, v17, v21
	v_mul_f32_e32 v43, v41, v38
	v_mul_f32_e64 v17, v17, -v20
	v_div_fmas_f32 v8, v8, v37, v42
	s_mov_b32 vcc_lo, s1
	v_fmac_f32_e32 v12, v20, v16
	v_fma_f32 v44, -v36, v43, v41
	v_fmac_f32_e32 v17, v21, v16
	v_add_nc_u32_e32 v16, 0x1f8, v32
	v_div_fixup_f32 v8, v8, v33, 1.0
	v_fmac_f32_e32 v5, v11, v7
	v_fmac_f32_e32 v43, v44, v38
	s_delay_alu instid0(VALU_DEP_2) | instskip(NEXT) | instid1(VALU_DEP_2)
	v_mul_f32_e32 v5, v8, v5
	v_fma_f32 v35, -v36, v43, v41
	s_delay_alu instid0(VALU_DEP_1) | instskip(NEXT) | instid1(VALU_DEP_1)
	v_div_fmas_f32 v35, v35, v38, v43
	v_div_fixup_f32 v7, v35, v34, 1.0
	s_delay_alu instid0(VALU_DEP_1) | instskip(SKIP_1) | instid1(VALU_DEP_1)
	v_mul_f32_e32 v12, v7, v12
	v_mul_f32_e32 v11, v45, v8
	v_mul_f32_e64 v20, v11, -v19
	s_delay_alu instid0(VALU_DEP_1)
	v_fmac_f32_e32 v20, v18, v5
	v_mul_f32_e32 v34, v11, v22
	v_mul_f32_e64 v33, v11, -v23
	v_mul_f32_e32 v21, v11, v18
	v_mul_f32_e64 v8, v11, -v30
	v_sub_f32_e32 v20, v9, v20
	v_dual_mul_f32 v17, v17, v7 :: v_dual_fmac_f32 v34, v23, v5
	s_delay_alu instid0(VALU_DEP_3) | instskip(NEXT) | instid1(VALU_DEP_2)
	v_fma_f32 v8, -v31, v5, v8
	v_mul_f32_e64 v18, v17, -v15
	s_delay_alu instid0(VALU_DEP_3)
	v_sub_f32_e32 v23, v25, v34
	v_fmac_f32_e32 v33, v22, v5
	v_mul_f32_e32 v7, v11, v31
	s_waitcnt lgkmcnt(0)
	v_mul_f32_e64 v11, v17, -v29
	v_mul_f32_e32 v22, v17, v28
	v_dual_fmac_f32 v18, v14, v12 :: v_dual_fmac_f32 v21, v19, v5
	v_dual_mul_f32 v19, v17, v14 :: v_dual_sub_f32 v14, v24, v33
	s_delay_alu instid0(VALU_DEP_3)
	v_fmac_f32_e32 v22, v29, v12
	v_fma_f32 v7, -v30, v5, v7
	v_mul_f32_e32 v5, v17, v27
	v_mul_f32_e64 v17, v17, -v26
	v_fmac_f32_e32 v11, v28, v12
	v_sub_f32_e32 v21, v10, v21
	v_fmac_f32_e32 v19, v15, v12
	s_delay_alu instid0(VALU_DEP_4) | instskip(NEXT) | instid1(VALU_DEP_4)
	v_fma_f32 v10, -v27, v12, v17
	v_dual_sub_f32 v11, v14, v11 :: v_dual_sub_f32 v14, v20, v18
	v_fma_f32 v9, -v26, v12, v5
	s_delay_alu instid0(VALU_DEP_4)
	v_dual_sub_f32 v12, v23, v22 :: v_dual_sub_f32 v15, v21, v19
	ds_store_b64 v32, v[11:12] offset:16376
	ds_store_b64 v39, v[7:8]
	ds_store_2addr_stride64_b64 v16, v[14:15], v[9:10] offset0:7 offset1:15
.LBB50_2:
	s_or_b32 exec_lo, exec_lo, s2
	v_cmp_gt_u32_e64 s1, 0x80, v0
	s_waitcnt lgkmcnt(0)
	s_barrier
	buffer_gl0_inv
	s_and_saveexec_b32 s3, s1
	s_cbranch_execz .LBB50_4
; %bb.3:
	v_lshl_or_b32 v5, v6, 2, 1
	v_lshlrev_b32_e32 v32, 5, v6
	s_delay_alu instid0(VALU_DEP_2) | instskip(NEXT) | instid1(VALU_DEP_2)
	v_min_u32_e32 v5, 0x1ff, v5
	v_add_nc_u32_e32 v7, 0x800, v32
	s_delay_alu instid0(VALU_DEP_2)
	v_lshlrev_b32_e32 v5, 3, v5
	ds_load_2addr_b64 v[7:10], v7 offset0:253 offset1:255
	ds_load_2addr_stride64_b64 v[14:17], v5 offset1:8
	s_waitcnt lgkmcnt(0)
	v_dual_mul_f32 v33, v8, v8 :: v_dual_mul_f32 v34, v17, v17
	v_subrev_nc_u32_e32 v26, 24, v32
	s_delay_alu instid0(VALU_DEP_2) | instskip(NEXT) | instid1(VALU_DEP_3)
	v_dual_fmac_f32 v33, v7, v7 :: v_dual_add_nc_u32 v18, 0x1800, v32
	v_fmac_f32_e32 v34, v16, v16
	s_delay_alu instid0(VALU_DEP_2) | instskip(NEXT) | instid1(VALU_DEP_2)
	v_div_scale_f32 v35, null, v33, v33, 1.0
	v_div_scale_f32 v36, null, v34, v34, 1.0
	v_div_scale_f32 v40, vcc_lo, 1.0, v33, 1.0
	s_delay_alu instid0(VALU_DEP_3) | instskip(NEXT) | instid1(VALU_DEP_2)
	v_rcp_f32_e32 v37, v35
	v_rcp_f32_e32 v38, v36
	v_div_scale_f32 v41, s2, 1.0, v34, 1.0
	s_waitcnt_depctr 0xfff
	v_fma_f32 v22, -v35, v37, 1.0
	v_fma_f32 v23, -v36, v38, 1.0
	v_add_nc_u32_e32 v39, -8, v32
	s_delay_alu instid0(VALU_DEP_3) | instskip(NEXT) | instid1(VALU_DEP_3)
	v_dual_fmac_f32 v37, v22, v37 :: v_dual_add_nc_u32 v22, 0x3800, v32
	v_fmac_f32_e32 v38, v23, v38
	ds_load_b64 v[11:12], v39
	ds_load_2addr_b64 v[18:21], v18 offset0:253 offset1:255
	ds_load_b64 v[30:31], v26
	v_mul_f32_e32 v42, v40, v37
	ds_load_2addr_b64 v[22:25], v22 offset0:253 offset1:255
	v_mul_f32_e32 v43, v41, v38
	v_fma_f32 v27, -v35, v42, v40
	s_delay_alu instid0(VALU_DEP_2) | instskip(NEXT) | instid1(VALU_DEP_2)
	v_fma_f32 v44, -v36, v43, v41
	v_fmac_f32_e32 v42, v27, v37
	ds_load_2addr_stride64_b64 v[26:29], v5 offset0:16 offset1:32
	v_fmac_f32_e32 v43, v44, v38
	s_waitcnt lgkmcnt(4)
	v_mul_f32_e64 v45, v8, -v11
	v_mul_f32_e32 v5, v8, v12
	v_fma_f32 v8, -v35, v42, v40
	v_fma_f32 v35, -v36, v43, v41
	s_waitcnt lgkmcnt(3)
	v_dual_fmac_f32 v45, v12, v7 :: v_dual_mul_f32 v12, v17, v21
	s_delay_alu instid0(VALU_DEP_3)
	v_div_fmas_f32 v8, v8, v37, v42
	s_mov_b32 vcc_lo, s2
	v_mul_f32_e64 v17, v17, -v20
	v_div_fmas_f32 v35, v35, v38, v43
	v_dual_fmac_f32 v5, v11, v7 :: v_dual_fmac_f32 v12, v20, v16
	v_div_fixup_f32 v8, v8, v33, 1.0
	s_delay_alu instid0(VALU_DEP_4) | instskip(NEXT) | instid1(VALU_DEP_4)
	v_fmac_f32_e32 v17, v21, v16
	v_div_fixup_f32 v7, v35, v34, 1.0
	s_delay_alu instid0(VALU_DEP_3) | instskip(NEXT) | instid1(VALU_DEP_2)
	v_dual_mul_f32 v5, v8, v5 :: v_dual_add_nc_u32 v16, 0x1f8, v32
	v_mul_f32_e32 v12, v7, v12
	v_mul_f32_e32 v11, v45, v8
	s_delay_alu instid0(VALU_DEP_1) | instskip(NEXT) | instid1(VALU_DEP_1)
	v_mul_f32_e64 v20, v11, -v19
	v_fmac_f32_e32 v20, v18, v5
	s_waitcnt lgkmcnt(1)
	v_mul_f32_e64 v33, v11, -v23
	v_dual_mul_f32 v34, v11, v22 :: v_dual_mul_f32 v17, v17, v7
	s_delay_alu instid0(VALU_DEP_3) | instskip(NEXT) | instid1(VALU_DEP_3)
	v_dual_mul_f32 v7, v11, v31 :: v_dual_sub_f32 v20, v9, v20
	v_fmac_f32_e32 v33, v22, v5
	s_delay_alu instid0(VALU_DEP_3)
	v_fmac_f32_e32 v34, v23, v5
	s_waitcnt lgkmcnt(0)
	v_dual_mul_f32 v21, v11, v18 :: v_dual_mul_f32 v22, v17, v28
	v_mul_f32_e64 v8, v11, -v30
	v_mul_f32_e64 v18, v17, -v15
	;; [unrolled: 1-line block ×3, first 2 shown]
	s_delay_alu instid0(VALU_DEP_4)
	v_dual_fmac_f32 v21, v19, v5 :: v_dual_fmac_f32 v22, v29, v12
	v_mul_f32_e32 v19, v17, v14
	v_fma_f32 v7, -v30, v5, v7
	v_fma_f32 v8, -v31, v5, v8
	v_fmac_f32_e32 v18, v14, v12
	v_dual_sub_f32 v14, v24, v33 :: v_dual_sub_f32 v23, v25, v34
	v_mul_f32_e32 v5, v17, v27
	v_mul_f32_e64 v17, v17, -v26
	v_fmac_f32_e32 v11, v28, v12
	v_sub_f32_e32 v21, v10, v21
	v_fmac_f32_e32 v19, v15, v12
	v_fma_f32 v9, -v26, v12, v5
	v_fma_f32 v10, -v27, v12, v17
	v_dual_sub_f32 v11, v14, v11 :: v_dual_sub_f32 v14, v20, v18
	s_delay_alu instid0(VALU_DEP_4)
	v_dual_sub_f32 v12, v23, v22 :: v_dual_sub_f32 v15, v21, v19
	ds_store_b64 v32, v[11:12] offset:16376
	ds_store_b64 v39, v[7:8]
	ds_store_2addr_stride64_b64 v16, v[14:15], v[9:10] offset0:7 offset1:15
.LBB50_4:
	s_or_b32 exec_lo, exec_lo, s3
	v_cmp_gt_u32_e64 s2, 64, v0
	v_lshlrev_b32_e32 v14, 6, v6
	s_waitcnt lgkmcnt(0)
	s_barrier
	buffer_gl0_inv
	s_and_saveexec_b32 s4, s2
	s_cbranch_execz .LBB50_6
; %bb.5:
	v_lshl_or_b32 v5, v6, 3, 3
	v_subrev_nc_u32_e32 v28, 40, v14
	v_add_nc_u32_e32 v20, 0x1800, v14
	v_add_nc_u32_e32 v44, 0x1f8, v14
	s_delay_alu instid0(VALU_DEP_4)
	v_min_u32_e32 v5, 0x1ff, v5
	ds_load_b64 v[31:32], v28
	v_lshlrev_b32_e32 v5, 3, v5
	ds_load_2addr_stride64_b64 v[15:18], v5 offset1:8
	s_waitcnt lgkmcnt(0)
	v_mul_f32_e32 v34, v18, v18
	s_delay_alu instid0(VALU_DEP_1) | instskip(SKIP_3) | instid1(VALU_DEP_2)
	v_dual_fmac_f32 v34, v17, v17 :: v_dual_add_nc_u32 v7, 0x800, v14
	ds_load_2addr_b64 v[7:10], v7 offset0:251 offset1:255
	v_div_scale_f32 v37, null, v34, v34, 1.0
	v_div_scale_f32 v42, s3, 1.0, v34, 1.0
	v_rcp_f32_e32 v38, v37
	s_waitcnt_depctr 0xfff
	v_fma_f32 v19, -v37, v38, 1.0
	s_waitcnt lgkmcnt(0)
	s_delay_alu instid0(VALU_DEP_1) | instskip(NEXT) | instid1(VALU_DEP_1)
	v_dual_mul_f32 v33, v8, v8 :: v_dual_fmac_f32 v38, v19, v38
	v_fmac_f32_e32 v33, v7, v7
	ds_load_2addr_b64 v[19:22], v20 offset0:251 offset1:255
	v_div_scale_f32 v35, null, v33, v33, 1.0
	v_div_scale_f32 v40, vcc_lo, 1.0, v33, 1.0
	s_delay_alu instid0(VALU_DEP_2) | instskip(SKIP_2) | instid1(VALU_DEP_1)
	v_rcp_f32_e32 v36, v35
	s_waitcnt_depctr 0xfff
	v_fma_f32 v11, -v35, v36, 1.0
	v_dual_fmac_f32 v36, v11, v36 :: v_dual_add_nc_u32 v39, -8, v14
	ds_load_b64 v[11:12], v39
	v_mul_f32_e32 v41, v40, v36
	s_delay_alu instid0(VALU_DEP_1) | instskip(NEXT) | instid1(VALU_DEP_1)
	v_fma_f32 v27, -v35, v41, v40
	v_fmac_f32_e32 v41, v27, v36
	ds_load_2addr_stride64_b64 v[27:30], v5 offset0:16 offset1:32
	s_waitcnt lgkmcnt(1)
	v_mul_f32_e32 v5, v8, v12
	v_mul_f32_e64 v8, v8, -v11
	s_delay_alu instid0(VALU_DEP_1) | instskip(SKIP_4) | instid1(VALU_DEP_1)
	v_dual_fmac_f32 v8, v12, v7 :: v_dual_add_nc_u32 v23, 0x3800, v14
	ds_load_2addr_b64 v[23:26], v23 offset0:251 offset1:255
	v_fmac_f32_e32 v5, v11, v7
	v_mul_f32_e32 v7, v18, v22
	v_mul_f32_e64 v18, v18, -v21
	v_fmac_f32_e32 v18, v22, v17
	v_fma_f32 v35, -v35, v41, v40
	s_delay_alu instid0(VALU_DEP_1) | instskip(SKIP_1) | instid1(VALU_DEP_1)
	v_div_fmas_f32 v35, v35, v36, v41
	s_mov_b32 vcc_lo, s3
	v_div_fixup_f32 v12, v35, v33, 1.0
	s_delay_alu instid0(VALU_DEP_1) | instskip(NEXT) | instid1(VALU_DEP_1)
	v_dual_mul_f32 v43, v42, v38 :: v_dual_mul_f32 v8, v8, v12
	v_fma_f32 v45, -v37, v43, v42
	v_mul_f32_e32 v5, v12, v5
	s_waitcnt lgkmcnt(0)
	s_delay_alu instid0(VALU_DEP_2) | instskip(SKIP_1) | instid1(VALU_DEP_2)
	v_dual_mul_f32 v22, v8, v23 :: v_dual_fmac_f32 v43, v45, v38
	v_mul_f32_e64 v12, v8, -v20
	v_fma_f32 v11, -v37, v43, v42
	s_delay_alu instid0(VALU_DEP_2) | instskip(NEXT) | instid1(VALU_DEP_4)
	v_fmac_f32_e32 v12, v19, v5
	v_fmac_f32_e32 v22, v24, v5
	;; [unrolled: 1-line block ×3, first 2 shown]
	v_mul_f32_e32 v17, v8, v19
	v_div_fmas_f32 v11, v11, v38, v43
	v_mul_f32_e64 v21, v8, -v24
	s_delay_alu instid0(VALU_DEP_3) | instskip(NEXT) | instid1(VALU_DEP_3)
	v_fmac_f32_e32 v17, v20, v5
	v_div_fixup_f32 v11, v11, v34, 1.0
	v_sub_f32_e32 v20, v26, v22
	s_delay_alu instid0(VALU_DEP_2) | instskip(SKIP_1) | instid1(VALU_DEP_1)
	v_dual_sub_f32 v17, v10, v17 :: v_dual_mul_f32 v34, v11, v7
	v_mul_f32_e32 v11, v18, v11
	v_mul_f32_e64 v18, v11, -v16
	v_mul_f32_e32 v19, v11, v15
	v_dual_mul_f32 v22, v11, v29 :: v_dual_mul_f32 v33, v8, v32
	v_mul_f32_e64 v8, v8, -v31
	s_delay_alu instid0(VALU_DEP_4) | instskip(NEXT) | instid1(VALU_DEP_4)
	v_fmac_f32_e32 v18, v15, v34
	v_fmac_f32_e32 v19, v16, v34
	s_delay_alu instid0(VALU_DEP_4) | instskip(SKIP_2) | instid1(VALU_DEP_4)
	v_dual_fmac_f32 v22, v30, v34 :: v_dual_fmac_f32 v21, v23, v5
	v_fma_f32 v7, -v31, v5, v33
	v_fma_f32 v8, -v32, v5, v8
	v_sub_f32_e32 v16, v17, v19
	v_sub_f32_e32 v5, v9, v12
	;; [unrolled: 1-line block ×3, first 2 shown]
	v_mul_f32_e64 v21, v11, -v30
	v_mul_f32_e32 v9, v11, v28
	v_mul_f32_e64 v10, v11, -v27
	v_sub_f32_e32 v15, v5, v18
	s_delay_alu instid0(VALU_DEP_4) | instskip(NEXT) | instid1(VALU_DEP_4)
	v_fmac_f32_e32 v21, v29, v34
	v_fma_f32 v9, -v27, v34, v9
	s_delay_alu instid0(VALU_DEP_4) | instskip(NEXT) | instid1(VALU_DEP_3)
	v_fma_f32 v10, -v28, v34, v10
	v_sub_f32_e32 v11, v12, v21
	v_sub_f32_e32 v12, v20, v22
	ds_store_b64 v14, v[11:12] offset:16376
	ds_store_b64 v39, v[7:8]
	ds_store_2addr_stride64_b64 v44, v[15:16], v[9:10] offset0:7 offset1:15
.LBB50_6:
	s_or_b32 exec_lo, exec_lo, s4
	s_waitcnt lgkmcnt(0)
	s_barrier
	buffer_gl0_inv
	s_and_saveexec_b32 s3, s2
	s_cbranch_execz .LBB50_8
; %bb.7:
	v_add_nc_u32_e32 v5, 0x1f8, v14
	v_add_nc_u32_e32 v11, -8, v14
	ds_load_2addr_stride64_b64 v[7:10], v5 offset0:7 offset1:15
	ds_load_b64 v[11:12], v11
	ds_load_b64 v[15:16], v14 offset:16376
	s_waitcnt lgkmcnt(1)
	ds_store_2addr_stride64_b64 v13, v[11:12], v[7:8] offset0:40 offset1:41
	s_waitcnt lgkmcnt(1)
	ds_store_2addr_stride64_b64 v13, v[9:10], v[15:16] offset0:42 offset1:44
.LBB50_8:
	s_or_b32 exec_lo, exec_lo, s3
	v_or_b32_e32 v16, 0x5000, v13
	v_add_nc_u32_e32 v17, 0x5400, v13
	v_add_nc_u32_e32 v18, 0x5200, v13
	v_or_b32_e32 v15, 0x5800, v13
	s_waitcnt lgkmcnt(0)
	s_barrier
	buffer_gl0_inv
                                        ; implicit-def: $vgpr11
                                        ; implicit-def: $vgpr7
                                        ; implicit-def: $vgpr9
                                        ; implicit-def: $vgpr5
	s_and_saveexec_b32 s4, s2
	s_cbranch_execz .LBB50_10
; %bb.9:
	v_max_u32_e32 v5, 1, v0
	v_min_u32_e32 v6, 63, v6
	s_delay_alu instid0(VALU_DEP_2) | instskip(NEXT) | instid1(VALU_DEP_2)
	v_lshlrev_b32_e32 v5, 3, v5
	v_lshlrev_b32_e32 v23, 3, v6
	s_delay_alu instid0(VALU_DEP_2)
	v_add_nc_u32_e32 v27, 0x1f8, v5
	ds_load_2addr_stride64_b64 v[7:10], v23 offset0:40 offset1:41
	ds_load_2addr_stride64_b64 v[19:22], v27 offset0:39 offset1:40
	ds_load_b64 v[5:6], v16
	ds_load_b64 v[11:12], v17
	;; [unrolled: 1-line block ×4, first 2 shown]
	s_waitcnt lgkmcnt(5)
	v_mul_f32_e32 v35, v10, v10
	s_waitcnt lgkmcnt(4)
	s_delay_alu instid0(VALU_DEP_1) | instskip(NEXT) | instid1(VALU_DEP_1)
	v_dual_mul_f32 v36, v22, v22 :: v_dual_fmac_f32 v35, v9, v9
	v_fmac_f32_e32 v36, v21, v21
	s_delay_alu instid0(VALU_DEP_2) | instskip(NEXT) | instid1(VALU_DEP_2)
	v_div_scale_f32 v37, null, v35, v35, 1.0
	v_div_scale_f32 v38, null, v36, v36, 1.0
	v_div_scale_f32 v42, s3, 1.0, v35, 1.0
	s_delay_alu instid0(VALU_DEP_3) | instskip(NEXT) | instid1(VALU_DEP_2)
	v_rcp_f32_e32 v39, v37
	v_rcp_f32_e32 v40, v38
	v_div_scale_f32 v41, vcc_lo, 1.0, v36, 1.0
	s_waitcnt_depctr 0xfff
	v_fma_f32 v24, -v37, v39, 1.0
	v_fma_f32 v25, -v38, v40, 1.0
	s_delay_alu instid0(VALU_DEP_1) | instskip(SKIP_3) | instid1(VALU_DEP_1)
	v_dual_fmac_f32 v39, v24, v39 :: v_dual_fmac_f32 v40, v25, v40
	ds_load_2addr_stride64_b64 v[23:26], v23 offset0:42 offset1:44
	ds_load_2addr_stride64_b64 v[27:30], v27 offset0:41 offset1:43
	v_mul_f32_e32 v44, v42, v39
	v_fma_f32 v46, -v37, v44, v42
	s_delay_alu instid0(VALU_DEP_1) | instskip(NEXT) | instid1(VALU_DEP_1)
	v_dual_mul_f32 v43, v41, v40 :: v_dual_fmac_f32 v44, v46, v39
	v_fma_f32 v45, -v38, v43, v41
	s_waitcnt lgkmcnt(5)
	v_mul_f32_e32 v46, v22, v6
	v_mul_f32_e64 v22, v22, -v5
	v_fma_f32 v37, -v37, v44, v42
	v_fmac_f32_e32 v43, v45, v40
	s_waitcnt lgkmcnt(4)
	v_mul_f32_e32 v45, v10, v12
	v_fmac_f32_e32 v22, v6, v21
	v_mul_f32_e64 v10, v10, -v11
	v_fmac_f32_e32 v46, v5, v21
	v_fma_f32 v38, -v38, v43, v41
	s_delay_alu instid0(VALU_DEP_3) | instskip(NEXT) | instid1(VALU_DEP_2)
	v_fmac_f32_e32 v10, v12, v9
	v_div_fmas_f32 v38, v38, v40, v43
	s_mov_b32 vcc_lo, s3
	v_div_fmas_f32 v37, v37, v39, v44
	s_delay_alu instid0(VALU_DEP_2) | instskip(SKIP_1) | instid1(VALU_DEP_3)
	v_div_fixup_f32 v6, v38, v36, 1.0
	v_fmac_f32_e32 v45, v11, v9
	v_div_fixup_f32 v5, v37, v35, 1.0
	s_delay_alu instid0(VALU_DEP_3) | instskip(NEXT) | instid1(VALU_DEP_2)
	v_mul_f32_e32 v9, v22, v6
	v_dual_mul_f32 v6, v6, v46 :: v_dual_mul_f32 v21, v5, v45
	v_mul_f32_e32 v5, v10, v5
	s_waitcnt lgkmcnt(1)
	s_delay_alu instid0(VALU_DEP_1) | instskip(SKIP_4) | instid1(VALU_DEP_3)
	v_mul_f32_e32 v40, v5, v24
	s_waitcnt lgkmcnt(0)
	v_mul_f32_e64 v10, v9, -v28
	v_mul_f32_e64 v12, v9, -v30
	v_mul_f32_e32 v22, v9, v29
	v_dual_mul_f32 v11, v9, v27 :: v_dual_fmac_f32 v10, v27, v6
	s_delay_alu instid0(VALU_DEP_3) | instskip(NEXT) | instid1(VALU_DEP_3)
	v_fmac_f32_e32 v12, v29, v6
	v_fmac_f32_e32 v22, v30, v6
	v_mul_f32_e64 v36, v5, -v8
	v_mul_f32_e32 v37, v5, v7
	v_mul_f32_e64 v38, v5, -v26
	v_fmac_f32_e32 v11, v28, v6
	v_mul_f32_e32 v39, v5, v25
	v_dual_mul_f32 v35, v9, v20 :: v_dual_fmac_f32 v36, v7, v21
	v_mul_f32_e64 v9, v9, -v19
	v_mul_f32_e64 v41, v5, -v23
	v_dual_fmac_f32 v37, v8, v21 :: v_dual_sub_f32 v8, v31, v10
	v_fmac_f32_e32 v38, v25, v21
	v_dual_sub_f32 v10, v32, v11 :: v_dual_fmac_f32 v39, v26, v21
	v_dual_sub_f32 v11, v33, v12 :: v_dual_sub_f32 v12, v34, v22
	v_fma_f32 v5, -v19, v6, v35
	s_delay_alu instid0(VALU_DEP_3)
	v_sub_f32_e32 v10, v10, v37
	v_fma_f32 v6, -v20, v6, v9
	v_fma_f32 v7, -v23, v21, v40
	v_sub_f32_e32 v9, v8, v36
	v_dual_sub_f32 v11, v11, v38 :: v_dual_sub_f32 v12, v12, v39
	v_fma_f32 v8, -v24, v21, v41
.LBB50_10:
	s_or_b32 exec_lo, exec_lo, s4
	s_barrier
	buffer_gl0_inv
	s_and_saveexec_b32 s3, s2
	s_cbranch_execz .LBB50_12
; %bb.11:
	ds_store_b64 v15, v[11:12]
	ds_store_b64 v16, v[5:6]
	;; [unrolled: 1-line block ×4, first 2 shown]
.LBB50_12:
	s_or_b32 exec_lo, exec_lo, s3
	s_waitcnt lgkmcnt(0)
	s_barrier
	buffer_gl0_inv
	s_and_saveexec_b32 s4, s2
	s_cbranch_execz .LBB50_14
; %bb.13:
	v_max_u32_e32 v5, 2, v0
	v_min_u32_e32 v6, 61, v0
	s_delay_alu instid0(VALU_DEP_2) | instskip(NEXT) | instid1(VALU_DEP_2)
	v_lshlrev_b32_e32 v5, 3, v5
	v_lshlrev_b32_e32 v6, 3, v6
	s_delay_alu instid0(VALU_DEP_2) | instskip(NEXT) | instid1(VALU_DEP_2)
	v_add_nc_u32_e32 v19, 0x1f0, v5
	v_add_nc_u32_e32 v23, 16, v6
	ds_load_2addr_stride64_b64 v[5:8], v19 offset0:39 offset1:40
	ds_load_2addr_stride64_b64 v[9:12], v23 offset0:40 offset1:41
	ds_load_b64 v[27:28], v16
	ds_load_b64 v[29:30], v17
	;; [unrolled: 1-line block ×4, first 2 shown]
	s_waitcnt lgkmcnt(5)
	v_mul_f32_e32 v35, v8, v8
	s_waitcnt lgkmcnt(4)
	v_mul_f32_e32 v36, v12, v12
	s_delay_alu instid0(VALU_DEP_1) | instskip(NEXT) | instid1(VALU_DEP_1)
	v_fmac_f32_e32 v36, v11, v11
	v_div_scale_f32 v38, null, v36, v36, 1.0
	v_div_scale_f32 v42, s3, 1.0, v36, 1.0
	s_delay_alu instid0(VALU_DEP_2) | instskip(SKIP_2) | instid1(VALU_DEP_1)
	v_rcp_f32_e32 v40, v38
	s_waitcnt_depctr 0xfff
	v_fma_f32 v21, -v38, v40, 1.0
	v_dual_fmac_f32 v40, v21, v40 :: v_dual_fmac_f32 v35, v7, v7
	s_delay_alu instid0(VALU_DEP_1) | instskip(NEXT) | instid1(VALU_DEP_2)
	v_mul_f32_e32 v44, v42, v40
	v_div_scale_f32 v37, null, v35, v35, 1.0
	v_div_scale_f32 v41, vcc_lo, 1.0, v35, 1.0
	s_delay_alu instid0(VALU_DEP_3) | instskip(NEXT) | instid1(VALU_DEP_3)
	v_fma_f32 v46, -v38, v44, v42
	v_rcp_f32_e32 v39, v37
	s_delay_alu instid0(VALU_DEP_1) | instskip(SKIP_3) | instid1(VALU_DEP_3)
	v_fmac_f32_e32 v44, v46, v40
	s_waitcnt lgkmcnt(2)
	v_mul_f32_e32 v46, v12, v30
	v_mul_f32_e64 v12, v12, -v29
	v_fma_f32 v38, -v38, v44, v42
	s_waitcnt_depctr 0xfff
	v_fma_f32 v20, -v37, v39, 1.0
	v_fmac_f32_e32 v46, v29, v11
	s_delay_alu instid0(VALU_DEP_2) | instskip(SKIP_3) | instid1(VALU_DEP_1)
	v_fmac_f32_e32 v39, v20, v39
	ds_load_2addr_stride64_b64 v[19:22], v19 offset0:41 offset1:43
	ds_load_2addr_stride64_b64 v[23:26], v23 offset0:42 offset1:44
	v_mul_f32_e32 v43, v41, v39
	v_fma_f32 v45, -v37, v43, v41
	s_delay_alu instid0(VALU_DEP_1) | instskip(SKIP_2) | instid1(VALU_DEP_3)
	v_fmac_f32_e32 v43, v45, v39
	v_mul_f32_e32 v45, v8, v28
	v_mul_f32_e64 v8, v8, -v27
	v_fma_f32 v37, -v37, v43, v41
	s_delay_alu instid0(VALU_DEP_3) | instskip(NEXT) | instid1(VALU_DEP_3)
	v_fmac_f32_e32 v45, v27, v7
	v_fmac_f32_e32 v8, v28, v7
	s_delay_alu instid0(VALU_DEP_3) | instskip(SKIP_2) | instid1(VALU_DEP_2)
	v_div_fmas_f32 v37, v37, v39, v43
	s_mov_b32 vcc_lo, s3
	v_div_fmas_f32 v38, v38, v40, v44
	v_div_fixup_f32 v28, v37, v35, 1.0
	v_fmac_f32_e32 v12, v30, v11
	s_delay_alu instid0(VALU_DEP_3) | instskip(NEXT) | instid1(VALU_DEP_1)
	v_div_fixup_f32 v7, v38, v36, 1.0
	v_dual_mul_f32 v27, v7, v46 :: v_dual_mul_f32 v8, v8, v28
	s_waitcnt lgkmcnt(1)
	s_delay_alu instid0(VALU_DEP_1)
	v_mul_f32_e64 v29, v8, -v22
	v_mul_f32_e32 v30, v8, v21
	v_mul_f32_e32 v11, v28, v45
	;; [unrolled: 1-line block ×3, first 2 shown]
	v_mul_f32_e64 v12, v8, -v20
	v_mul_f32_e32 v28, v8, v19
	v_mul_f32_e32 v35, v8, v6
	v_mul_f32_e64 v8, v8, -v5
	v_fmac_f32_e32 v29, v21, v11
	v_fmac_f32_e32 v12, v19, v11
	s_delay_alu instid0(VALU_DEP_3) | instskip(NEXT) | instid1(VALU_DEP_2)
	v_fma_f32 v6, -v6, v11, v8
	v_sub_f32_e32 v8, v31, v12
	v_mul_f32_e64 v36, v7, -v10
	v_mul_f32_e32 v37, v7, v9
	s_waitcnt lgkmcnt(0)
	v_mul_f32_e64 v38, v7, -v26
	v_dual_mul_f32 v39, v7, v25 :: v_dual_fmac_f32 v28, v20, v11
	v_mul_f32_e32 v40, v7, v24
	v_fma_f32 v5, -v5, v11, v35
	v_fmac_f32_e32 v37, v10, v27
	v_fmac_f32_e32 v38, v25, v27
	;; [unrolled: 1-line block ×4, first 2 shown]
	v_dual_sub_f32 v10, v32, v28 :: v_dual_sub_f32 v11, v33, v29
	v_mul_f32_e64 v41, v7, -v23
	v_fmac_f32_e32 v39, v26, v27
	v_fma_f32 v7, -v23, v27, v40
	s_delay_alu instid0(VALU_DEP_4) | instskip(SKIP_2) | instid1(VALU_DEP_2)
	v_dual_sub_f32 v10, v10, v37 :: v_dual_sub_f32 v11, v11, v38
	v_dual_sub_f32 v9, v8, v36 :: v_dual_sub_f32 v12, v34, v30
	v_fma_f32 v8, -v24, v27, v41
	v_sub_f32_e32 v12, v12, v39
.LBB50_14:
	s_or_b32 exec_lo, exec_lo, s4
	s_barrier
	buffer_gl0_inv
	s_and_saveexec_b32 s3, s2
	s_cbranch_execz .LBB50_16
; %bb.15:
	ds_store_b64 v15, v[11:12]
	ds_store_b64 v16, v[5:6]
	;; [unrolled: 1-line block ×4, first 2 shown]
.LBB50_16:
	s_or_b32 exec_lo, exec_lo, s3
	s_waitcnt lgkmcnt(0)
	s_barrier
	buffer_gl0_inv
	s_and_saveexec_b32 s4, s2
	s_cbranch_execz .LBB50_18
; %bb.17:
	v_max_u32_e32 v5, 4, v0
	v_min_u32_e32 v6, 59, v0
	s_delay_alu instid0(VALU_DEP_2) | instskip(NEXT) | instid1(VALU_DEP_2)
	v_lshlrev_b32_e32 v5, 3, v5
	v_lshlrev_b32_e32 v6, 3, v6
	s_delay_alu instid0(VALU_DEP_2) | instskip(NEXT) | instid1(VALU_DEP_2)
	v_add_nc_u32_e32 v19, 0x1e0, v5
	v_add_nc_u32_e32 v23, 32, v6
	ds_load_2addr_stride64_b64 v[5:8], v19 offset0:39 offset1:40
	ds_load_2addr_stride64_b64 v[9:12], v23 offset0:40 offset1:41
	ds_load_b64 v[27:28], v16
	ds_load_b64 v[29:30], v17
	;; [unrolled: 1-line block ×4, first 2 shown]
	s_waitcnt lgkmcnt(5)
	v_mul_f32_e32 v35, v8, v8
	s_waitcnt lgkmcnt(4)
	v_mul_f32_e32 v36, v12, v12
	s_delay_alu instid0(VALU_DEP_1) | instskip(NEXT) | instid1(VALU_DEP_1)
	v_fmac_f32_e32 v36, v11, v11
	v_div_scale_f32 v38, null, v36, v36, 1.0
	v_div_scale_f32 v42, s3, 1.0, v36, 1.0
	s_delay_alu instid0(VALU_DEP_2) | instskip(SKIP_2) | instid1(VALU_DEP_1)
	v_rcp_f32_e32 v40, v38
	s_waitcnt_depctr 0xfff
	v_fma_f32 v21, -v38, v40, 1.0
	v_dual_fmac_f32 v40, v21, v40 :: v_dual_fmac_f32 v35, v7, v7
	s_delay_alu instid0(VALU_DEP_1) | instskip(NEXT) | instid1(VALU_DEP_2)
	v_mul_f32_e32 v44, v42, v40
	v_div_scale_f32 v37, null, v35, v35, 1.0
	v_div_scale_f32 v41, vcc_lo, 1.0, v35, 1.0
	s_delay_alu instid0(VALU_DEP_3) | instskip(NEXT) | instid1(VALU_DEP_3)
	v_fma_f32 v46, -v38, v44, v42
	v_rcp_f32_e32 v39, v37
	s_delay_alu instid0(VALU_DEP_1) | instskip(SKIP_3) | instid1(VALU_DEP_3)
	v_fmac_f32_e32 v44, v46, v40
	s_waitcnt lgkmcnt(2)
	v_mul_f32_e32 v46, v12, v30
	v_mul_f32_e64 v12, v12, -v29
	v_fma_f32 v38, -v38, v44, v42
	s_waitcnt_depctr 0xfff
	v_fma_f32 v20, -v37, v39, 1.0
	v_fmac_f32_e32 v46, v29, v11
	s_delay_alu instid0(VALU_DEP_2) | instskip(SKIP_3) | instid1(VALU_DEP_1)
	v_fmac_f32_e32 v39, v20, v39
	ds_load_2addr_stride64_b64 v[19:22], v19 offset0:41 offset1:43
	ds_load_2addr_stride64_b64 v[23:26], v23 offset0:42 offset1:44
	v_mul_f32_e32 v43, v41, v39
	v_fma_f32 v45, -v37, v43, v41
	s_delay_alu instid0(VALU_DEP_1) | instskip(SKIP_2) | instid1(VALU_DEP_3)
	v_fmac_f32_e32 v43, v45, v39
	v_mul_f32_e32 v45, v8, v28
	v_mul_f32_e64 v8, v8, -v27
	v_fma_f32 v37, -v37, v43, v41
	s_delay_alu instid0(VALU_DEP_3) | instskip(NEXT) | instid1(VALU_DEP_3)
	v_fmac_f32_e32 v45, v27, v7
	v_fmac_f32_e32 v8, v28, v7
	s_delay_alu instid0(VALU_DEP_3) | instskip(SKIP_2) | instid1(VALU_DEP_2)
	v_div_fmas_f32 v37, v37, v39, v43
	s_mov_b32 vcc_lo, s3
	v_div_fmas_f32 v38, v38, v40, v44
	v_div_fixup_f32 v28, v37, v35, 1.0
	v_fmac_f32_e32 v12, v30, v11
	s_delay_alu instid0(VALU_DEP_3) | instskip(NEXT) | instid1(VALU_DEP_1)
	v_div_fixup_f32 v7, v38, v36, 1.0
	v_dual_mul_f32 v27, v7, v46 :: v_dual_mul_f32 v8, v8, v28
	s_waitcnt lgkmcnt(1)
	s_delay_alu instid0(VALU_DEP_1)
	v_mul_f32_e64 v29, v8, -v22
	v_mul_f32_e32 v30, v8, v21
	v_mul_f32_e32 v11, v28, v45
	;; [unrolled: 1-line block ×3, first 2 shown]
	v_mul_f32_e64 v12, v8, -v20
	v_mul_f32_e32 v28, v8, v19
	v_mul_f32_e32 v35, v8, v6
	v_mul_f32_e64 v8, v8, -v5
	v_fmac_f32_e32 v29, v21, v11
	v_fmac_f32_e32 v12, v19, v11
	s_delay_alu instid0(VALU_DEP_3) | instskip(NEXT) | instid1(VALU_DEP_2)
	v_fma_f32 v6, -v6, v11, v8
	v_sub_f32_e32 v8, v31, v12
	v_mul_f32_e64 v36, v7, -v10
	v_mul_f32_e32 v37, v7, v9
	s_waitcnt lgkmcnt(0)
	v_mul_f32_e64 v38, v7, -v26
	v_dual_mul_f32 v39, v7, v25 :: v_dual_fmac_f32 v28, v20, v11
	v_mul_f32_e32 v40, v7, v24
	v_fma_f32 v5, -v5, v11, v35
	v_fmac_f32_e32 v37, v10, v27
	v_fmac_f32_e32 v38, v25, v27
	;; [unrolled: 1-line block ×4, first 2 shown]
	v_dual_sub_f32 v10, v32, v28 :: v_dual_sub_f32 v11, v33, v29
	v_mul_f32_e64 v41, v7, -v23
	v_fmac_f32_e32 v39, v26, v27
	v_fma_f32 v7, -v23, v27, v40
	s_delay_alu instid0(VALU_DEP_4) | instskip(SKIP_2) | instid1(VALU_DEP_2)
	v_dual_sub_f32 v10, v10, v37 :: v_dual_sub_f32 v11, v11, v38
	v_dual_sub_f32 v9, v8, v36 :: v_dual_sub_f32 v12, v34, v30
	v_fma_f32 v8, -v24, v27, v41
	v_sub_f32_e32 v12, v12, v39
.LBB50_18:
	s_or_b32 exec_lo, exec_lo, s4
	s_barrier
	buffer_gl0_inv
	s_and_saveexec_b32 s3, s2
	s_cbranch_execz .LBB50_20
; %bb.19:
	ds_store_b64 v15, v[11:12]
	ds_store_b64 v16, v[5:6]
	;; [unrolled: 1-line block ×4, first 2 shown]
.LBB50_20:
	s_or_b32 exec_lo, exec_lo, s3
	s_waitcnt lgkmcnt(0)
	s_barrier
	buffer_gl0_inv
	s_and_saveexec_b32 s4, s2
	s_cbranch_execz .LBB50_22
; %bb.21:
	v_max_u32_e32 v5, 8, v0
	v_min_u32_e32 v6, 55, v0
	s_delay_alu instid0(VALU_DEP_2) | instskip(NEXT) | instid1(VALU_DEP_2)
	v_lshlrev_b32_e32 v5, 3, v5
	v_lshlrev_b32_e32 v6, 3, v6
	s_delay_alu instid0(VALU_DEP_2) | instskip(NEXT) | instid1(VALU_DEP_2)
	v_add_nc_u32_e32 v19, 0x1c0, v5
	v_add_nc_u32_e32 v23, 64, v6
	ds_load_2addr_stride64_b64 v[5:8], v19 offset0:39 offset1:40
	ds_load_2addr_stride64_b64 v[9:12], v23 offset0:40 offset1:41
	ds_load_b64 v[27:28], v16
	ds_load_b64 v[29:30], v17
	ds_load_b64 v[31:32], v18
	ds_load_b64 v[33:34], v15
	s_waitcnt lgkmcnt(5)
	v_mul_f32_e32 v35, v8, v8
	s_waitcnt lgkmcnt(4)
	v_mul_f32_e32 v36, v12, v12
	s_delay_alu instid0(VALU_DEP_1) | instskip(NEXT) | instid1(VALU_DEP_1)
	v_fmac_f32_e32 v36, v11, v11
	v_div_scale_f32 v38, null, v36, v36, 1.0
	v_div_scale_f32 v42, s3, 1.0, v36, 1.0
	s_delay_alu instid0(VALU_DEP_2) | instskip(SKIP_2) | instid1(VALU_DEP_1)
	v_rcp_f32_e32 v40, v38
	s_waitcnt_depctr 0xfff
	v_fma_f32 v21, -v38, v40, 1.0
	v_dual_fmac_f32 v40, v21, v40 :: v_dual_fmac_f32 v35, v7, v7
	s_delay_alu instid0(VALU_DEP_1) | instskip(NEXT) | instid1(VALU_DEP_2)
	v_mul_f32_e32 v44, v42, v40
	v_div_scale_f32 v37, null, v35, v35, 1.0
	v_div_scale_f32 v41, vcc_lo, 1.0, v35, 1.0
	s_delay_alu instid0(VALU_DEP_3) | instskip(NEXT) | instid1(VALU_DEP_3)
	v_fma_f32 v46, -v38, v44, v42
	v_rcp_f32_e32 v39, v37
	s_delay_alu instid0(VALU_DEP_1) | instskip(SKIP_3) | instid1(VALU_DEP_3)
	v_fmac_f32_e32 v44, v46, v40
	s_waitcnt lgkmcnt(2)
	v_mul_f32_e32 v46, v12, v30
	v_mul_f32_e64 v12, v12, -v29
	v_fma_f32 v38, -v38, v44, v42
	s_waitcnt_depctr 0xfff
	v_fma_f32 v20, -v37, v39, 1.0
	v_fmac_f32_e32 v46, v29, v11
	s_delay_alu instid0(VALU_DEP_2) | instskip(SKIP_3) | instid1(VALU_DEP_1)
	v_fmac_f32_e32 v39, v20, v39
	ds_load_2addr_stride64_b64 v[19:22], v19 offset0:41 offset1:43
	ds_load_2addr_stride64_b64 v[23:26], v23 offset0:42 offset1:44
	v_mul_f32_e32 v43, v41, v39
	v_fma_f32 v45, -v37, v43, v41
	s_delay_alu instid0(VALU_DEP_1) | instskip(SKIP_2) | instid1(VALU_DEP_3)
	v_fmac_f32_e32 v43, v45, v39
	v_mul_f32_e32 v45, v8, v28
	v_mul_f32_e64 v8, v8, -v27
	v_fma_f32 v37, -v37, v43, v41
	s_delay_alu instid0(VALU_DEP_3) | instskip(NEXT) | instid1(VALU_DEP_3)
	v_fmac_f32_e32 v45, v27, v7
	v_fmac_f32_e32 v8, v28, v7
	s_delay_alu instid0(VALU_DEP_3) | instskip(SKIP_2) | instid1(VALU_DEP_2)
	v_div_fmas_f32 v37, v37, v39, v43
	s_mov_b32 vcc_lo, s3
	v_div_fmas_f32 v38, v38, v40, v44
	v_div_fixup_f32 v28, v37, v35, 1.0
	v_fmac_f32_e32 v12, v30, v11
	s_delay_alu instid0(VALU_DEP_3) | instskip(NEXT) | instid1(VALU_DEP_1)
	v_div_fixup_f32 v7, v38, v36, 1.0
	v_dual_mul_f32 v27, v7, v46 :: v_dual_mul_f32 v8, v8, v28
	s_waitcnt lgkmcnt(1)
	s_delay_alu instid0(VALU_DEP_1)
	v_mul_f32_e64 v29, v8, -v22
	v_mul_f32_e32 v30, v8, v21
	v_mul_f32_e32 v11, v28, v45
	;; [unrolled: 1-line block ×3, first 2 shown]
	v_mul_f32_e64 v12, v8, -v20
	v_mul_f32_e32 v28, v8, v19
	v_mul_f32_e32 v35, v8, v6
	v_mul_f32_e64 v8, v8, -v5
	v_fmac_f32_e32 v29, v21, v11
	v_fmac_f32_e32 v12, v19, v11
	s_delay_alu instid0(VALU_DEP_3) | instskip(NEXT) | instid1(VALU_DEP_2)
	v_fma_f32 v6, -v6, v11, v8
	v_sub_f32_e32 v8, v31, v12
	v_mul_f32_e64 v36, v7, -v10
	v_mul_f32_e32 v37, v7, v9
	s_waitcnt lgkmcnt(0)
	v_mul_f32_e64 v38, v7, -v26
	v_dual_mul_f32 v39, v7, v25 :: v_dual_fmac_f32 v28, v20, v11
	v_mul_f32_e32 v40, v7, v24
	v_fma_f32 v5, -v5, v11, v35
	v_fmac_f32_e32 v37, v10, v27
	v_fmac_f32_e32 v38, v25, v27
	;; [unrolled: 1-line block ×4, first 2 shown]
	v_dual_sub_f32 v10, v32, v28 :: v_dual_sub_f32 v11, v33, v29
	v_mul_f32_e64 v41, v7, -v23
	v_fmac_f32_e32 v39, v26, v27
	v_fma_f32 v7, -v23, v27, v40
	s_delay_alu instid0(VALU_DEP_4) | instskip(SKIP_2) | instid1(VALU_DEP_2)
	v_dual_sub_f32 v10, v10, v37 :: v_dual_sub_f32 v11, v11, v38
	v_dual_sub_f32 v9, v8, v36 :: v_dual_sub_f32 v12, v34, v30
	v_fma_f32 v8, -v24, v27, v41
	v_sub_f32_e32 v12, v12, v39
.LBB50_22:
	s_or_b32 exec_lo, exec_lo, s4
	s_barrier
	buffer_gl0_inv
	s_and_saveexec_b32 s3, s2
	s_cbranch_execz .LBB50_24
; %bb.23:
	ds_store_b64 v15, v[11:12]
	ds_store_b64 v16, v[5:6]
	;; [unrolled: 1-line block ×4, first 2 shown]
.LBB50_24:
	s_or_b32 exec_lo, exec_lo, s3
	s_waitcnt lgkmcnt(0)
	s_barrier
	buffer_gl0_inv
	s_and_saveexec_b32 s4, s2
	s_cbranch_execz .LBB50_26
; %bb.25:
	v_max_u32_e32 v5, 16, v0
	v_min_u32_e32 v6, 47, v0
	s_delay_alu instid0(VALU_DEP_2) | instskip(NEXT) | instid1(VALU_DEP_2)
	v_lshlrev_b32_e32 v5, 3, v5
	v_lshlrev_b32_e32 v6, 3, v6
	s_delay_alu instid0(VALU_DEP_2) | instskip(NEXT) | instid1(VALU_DEP_2)
	v_add_nc_u32_e32 v19, 0x180, v5
	v_add_nc_u32_e32 v23, 0x80, v6
	ds_load_2addr_stride64_b64 v[5:8], v19 offset0:39 offset1:40
	ds_load_2addr_stride64_b64 v[9:12], v23 offset0:40 offset1:41
	ds_load_b64 v[27:28], v16
	ds_load_b64 v[29:30], v17
	;; [unrolled: 1-line block ×4, first 2 shown]
	s_waitcnt lgkmcnt(5)
	v_mul_f32_e32 v35, v8, v8
	s_waitcnt lgkmcnt(4)
	v_mul_f32_e32 v36, v12, v12
	s_delay_alu instid0(VALU_DEP_1) | instskip(NEXT) | instid1(VALU_DEP_1)
	v_fmac_f32_e32 v36, v11, v11
	v_div_scale_f32 v38, null, v36, v36, 1.0
	v_div_scale_f32 v42, s3, 1.0, v36, 1.0
	s_delay_alu instid0(VALU_DEP_2) | instskip(SKIP_2) | instid1(VALU_DEP_1)
	v_rcp_f32_e32 v40, v38
	s_waitcnt_depctr 0xfff
	v_fma_f32 v21, -v38, v40, 1.0
	v_dual_fmac_f32 v40, v21, v40 :: v_dual_fmac_f32 v35, v7, v7
	s_delay_alu instid0(VALU_DEP_1) | instskip(NEXT) | instid1(VALU_DEP_2)
	v_mul_f32_e32 v44, v42, v40
	v_div_scale_f32 v37, null, v35, v35, 1.0
	v_div_scale_f32 v41, vcc_lo, 1.0, v35, 1.0
	s_delay_alu instid0(VALU_DEP_3) | instskip(NEXT) | instid1(VALU_DEP_3)
	v_fma_f32 v46, -v38, v44, v42
	v_rcp_f32_e32 v39, v37
	s_delay_alu instid0(VALU_DEP_1) | instskip(SKIP_3) | instid1(VALU_DEP_3)
	v_fmac_f32_e32 v44, v46, v40
	s_waitcnt lgkmcnt(2)
	v_mul_f32_e32 v46, v12, v30
	v_mul_f32_e64 v12, v12, -v29
	v_fma_f32 v38, -v38, v44, v42
	s_waitcnt_depctr 0xfff
	v_fma_f32 v20, -v37, v39, 1.0
	v_fmac_f32_e32 v46, v29, v11
	s_delay_alu instid0(VALU_DEP_2) | instskip(SKIP_3) | instid1(VALU_DEP_1)
	v_fmac_f32_e32 v39, v20, v39
	ds_load_2addr_stride64_b64 v[19:22], v19 offset0:41 offset1:43
	ds_load_2addr_stride64_b64 v[23:26], v23 offset0:42 offset1:44
	v_mul_f32_e32 v43, v41, v39
	v_fma_f32 v45, -v37, v43, v41
	s_delay_alu instid0(VALU_DEP_1) | instskip(SKIP_2) | instid1(VALU_DEP_3)
	v_fmac_f32_e32 v43, v45, v39
	v_mul_f32_e32 v45, v8, v28
	v_mul_f32_e64 v8, v8, -v27
	v_fma_f32 v37, -v37, v43, v41
	s_delay_alu instid0(VALU_DEP_3) | instskip(NEXT) | instid1(VALU_DEP_3)
	v_fmac_f32_e32 v45, v27, v7
	v_fmac_f32_e32 v8, v28, v7
	s_delay_alu instid0(VALU_DEP_3) | instskip(SKIP_2) | instid1(VALU_DEP_2)
	v_div_fmas_f32 v37, v37, v39, v43
	s_mov_b32 vcc_lo, s3
	v_div_fmas_f32 v38, v38, v40, v44
	v_div_fixup_f32 v28, v37, v35, 1.0
	v_fmac_f32_e32 v12, v30, v11
	s_delay_alu instid0(VALU_DEP_3) | instskip(NEXT) | instid1(VALU_DEP_1)
	v_div_fixup_f32 v7, v38, v36, 1.0
	v_dual_mul_f32 v27, v7, v46 :: v_dual_mul_f32 v8, v8, v28
	s_waitcnt lgkmcnt(1)
	s_delay_alu instid0(VALU_DEP_1)
	v_mul_f32_e64 v29, v8, -v22
	v_mul_f32_e32 v30, v8, v21
	v_mul_f32_e32 v11, v28, v45
	;; [unrolled: 1-line block ×3, first 2 shown]
	v_mul_f32_e64 v12, v8, -v20
	v_mul_f32_e32 v28, v8, v19
	v_mul_f32_e32 v35, v8, v6
	v_mul_f32_e64 v8, v8, -v5
	v_fmac_f32_e32 v29, v21, v11
	v_fmac_f32_e32 v12, v19, v11
	s_delay_alu instid0(VALU_DEP_3) | instskip(NEXT) | instid1(VALU_DEP_2)
	v_fma_f32 v6, -v6, v11, v8
	v_sub_f32_e32 v8, v31, v12
	v_mul_f32_e64 v36, v7, -v10
	v_mul_f32_e32 v37, v7, v9
	s_waitcnt lgkmcnt(0)
	v_mul_f32_e64 v38, v7, -v26
	v_dual_mul_f32 v39, v7, v25 :: v_dual_fmac_f32 v28, v20, v11
	v_mul_f32_e32 v40, v7, v24
	v_fma_f32 v5, -v5, v11, v35
	v_fmac_f32_e32 v37, v10, v27
	v_fmac_f32_e32 v38, v25, v27
	;; [unrolled: 1-line block ×4, first 2 shown]
	v_dual_sub_f32 v10, v32, v28 :: v_dual_sub_f32 v11, v33, v29
	v_mul_f32_e64 v41, v7, -v23
	v_fmac_f32_e32 v39, v26, v27
	v_fma_f32 v7, -v23, v27, v40
	s_delay_alu instid0(VALU_DEP_4) | instskip(SKIP_2) | instid1(VALU_DEP_2)
	v_dual_sub_f32 v10, v10, v37 :: v_dual_sub_f32 v11, v11, v38
	v_dual_sub_f32 v9, v8, v36 :: v_dual_sub_f32 v12, v34, v30
	v_fma_f32 v8, -v24, v27, v41
	v_sub_f32_e32 v12, v12, v39
.LBB50_26:
	s_or_b32 exec_lo, exec_lo, s4
	s_barrier
	buffer_gl0_inv
	s_and_saveexec_b32 s3, s2
	s_cbranch_execz .LBB50_28
; %bb.27:
	ds_store_b64 v15, v[11:12]
	ds_store_b64 v16, v[5:6]
	;; [unrolled: 1-line block ×4, first 2 shown]
.LBB50_28:
	s_or_b32 exec_lo, exec_lo, s3
	s_delay_alu instid0(SALU_CYCLE_1)
	s_mov_b32 s3, exec_lo
	s_waitcnt lgkmcnt(0)
	s_barrier
	buffer_gl0_inv
	v_cmpx_gt_u32_e32 32, v0
	s_cbranch_execz .LBB50_30
; %bb.29:
	ds_load_2addr_b64 v[5:8], v18 offset1:32
	ds_load_b64 v[17:18], v17
	ds_load_b64 v[19:20], v16 offset:256
	s_waitcnt lgkmcnt(2)
	v_mul_f32_e32 v9, v6, v7
	v_mul_f32_e64 v11, v6, -v8
	s_waitcnt lgkmcnt(0)
	v_mul_f32_e32 v10, v20, v17
	v_mul_f32_e64 v12, v20, -v18
	v_fmac_f32_e32 v9, v8, v5
	s_delay_alu instid0(VALU_DEP_3) | instskip(NEXT) | instid1(VALU_DEP_3)
	v_dual_fmac_f32 v11, v7, v5 :: v_dual_fmac_f32 v10, v18, v19
	v_fmac_f32_e32 v12, v17, v19
	s_delay_alu instid0(VALU_DEP_1)
	v_dual_sub_f32 v16, v9, v10 :: v_dual_sub_f32 v21, v11, v12
	ds_load_2addr_b64 v[9:12], v15 offset1:32
	s_waitcnt lgkmcnt(0)
	v_mul_f32_e64 v29, v12, -v18
	v_mul_f32_e32 v22, v16, v16
	v_mul_f32_e64 v26, v10, -v8
	v_mul_f32_e64 v31, v6, -v12
	v_mul_f32_e32 v6, v6, v11
	v_fmac_f32_e32 v29, v17, v11
	v_fmac_f32_e32 v22, v21, v21
	s_delay_alu instid0(VALU_DEP_4) | instskip(NEXT) | instid1(VALU_DEP_4)
	v_dual_mul_f32 v28, v10, v7 :: v_dual_fmac_f32 v31, v11, v5
	v_fmac_f32_e32 v6, v12, v5
	v_fma_f32 v5, v21, 0, -v16
	s_delay_alu instid0(VALU_DEP_4) | instskip(SKIP_2) | instid1(VALU_DEP_3)
	v_div_scale_f32 v23, null, v22, v22, 1.0
	v_div_scale_f32 v25, vcc_lo, 1.0, v22, 1.0
	v_fmac_f32_e32 v28, v8, v9
	v_rcp_f32_e32 v24, v23
	v_fmac_f32_e32 v26, v7, v9
	v_fma_f32 v8, 0, v16, v21
	s_waitcnt_depctr 0xfff
	v_fma_f32 v15, -v23, v24, 1.0
	s_delay_alu instid0(VALU_DEP_1) | instskip(NEXT) | instid1(VALU_DEP_1)
	v_fmac_f32_e32 v24, v15, v24
	v_mul_f32_e32 v15, v25, v24
	s_delay_alu instid0(VALU_DEP_1) | instskip(NEXT) | instid1(VALU_DEP_1)
	v_fma_f32 v27, -v23, v15, v25
	v_fmac_f32_e32 v15, v27, v24
	v_mul_f32_e64 v27, v20, -v10
	s_delay_alu instid0(VALU_DEP_2) | instskip(NEXT) | instid1(VALU_DEP_2)
	v_fma_f32 v7, -v23, v15, v25
	v_dual_fmac_f32 v27, v9, v19 :: v_dual_mul_f32 v30, v12, v17
	s_delay_alu instid0(VALU_DEP_2) | instskip(NEXT) | instid1(VALU_DEP_2)
	v_div_fmas_f32 v7, v7, v24, v15
	v_sub_f32_e32 v15, v31, v27
	s_delay_alu instid0(VALU_DEP_3) | instskip(NEXT) | instid1(VALU_DEP_3)
	v_fmac_f32_e32 v30, v18, v11
	v_div_fixup_f32 v7, v7, v22, 1.0
	s_delay_alu instid0(VALU_DEP_1) | instskip(SKIP_1) | instid1(VALU_DEP_1)
	v_dual_sub_f32 v11, v26, v29 :: v_dual_mul_f32 v16, v8, v7
	v_mul_f32_e32 v20, v20, v9
	v_fmac_f32_e32 v20, v10, v19
	v_mul_f32_e32 v10, v5, v7
	s_delay_alu instid0(VALU_DEP_2) | instskip(NEXT) | instid1(VALU_DEP_2)
	v_sub_f32_e32 v12, v6, v20
	v_mul_f32_e32 v6, v11, v10
	v_mul_f32_e32 v8, v10, v15
	s_delay_alu instid0(VALU_DEP_3) | instskip(NEXT) | instid1(VALU_DEP_2)
	v_mul_f32_e64 v7, v10, -v12
	v_fmac_f32_e32 v8, v12, v16
	s_delay_alu instid0(VALU_DEP_2) | instskip(SKIP_1) | instid1(VALU_DEP_1)
	v_fmac_f32_e32 v7, v15, v16
	v_sub_f32_e32 v9, v28, v30
	v_mul_f32_e64 v5, v10, -v9
	v_dual_fmac_f32 v6, v9, v16 :: v_dual_add_nc_u32 v9, 0x5000, v13
	s_delay_alu instid0(VALU_DEP_2)
	v_fmac_f32_e32 v5, v11, v16
	ds_store_2addr_b64 v9, v[5:6], v[7:8] offset0:192 offset1:224
.LBB50_30:
	s_or_b32 exec_lo, exec_lo, s3
	s_waitcnt lgkmcnt(0)
	s_barrier
	buffer_gl0_inv
	s_and_saveexec_b32 s3, s2
	s_cbranch_execz .LBB50_32
; %bb.31:
	ds_load_b64 v[5:6], v13 offset:22016
	s_waitcnt lgkmcnt(0)
	ds_store_b64 v14, v[5:6] offset:12280
.LBB50_32:
	s_or_b32 exec_lo, exec_lo, s3
	s_waitcnt lgkmcnt(0)
	s_barrier
	buffer_gl0_inv
	s_and_saveexec_b32 s3, s2
	s_cbranch_execz .LBB50_38
; %bb.33:
	v_lshlrev_b32_e32 v7, 3, v13
	s_mov_b32 s2, exec_lo
                                        ; implicit-def: $vgpr6
	v_cmpx_ne_u32_e32 0, v0
	s_xor_b32 s2, exec_lo, s2
	s_cbranch_execz .LBB50_35
; %bb.34:
	v_add_nc_u32_e32 v5, 24, v7
	ds_load_2addr_stride64_b64 v[8:11], v5 offset1:8
	v_add_nc_u32_e32 v5, 0x2c00, v7
	ds_load_2addr_b64 v[14:17], v5 offset0:127 offset1:135
	ds_load_b64 v[5:6], v7 offset:8216
	ds_load_b64 v[18:19], v7 offset:16408
	s_waitcnt lgkmcnt(3)
	v_mul_f32_e32 v12, v11, v11
	s_delay_alu instid0(VALU_DEP_1) | instskip(NEXT) | instid1(VALU_DEP_1)
	v_fmac_f32_e32 v12, v10, v10
	v_div_scale_f32 v20, null, v12, v12, 1.0
	v_div_scale_f32 v23, vcc_lo, 1.0, v12, 1.0
	s_delay_alu instid0(VALU_DEP_2) | instskip(SKIP_3) | instid1(VALU_DEP_1)
	v_rcp_f32_e32 v21, v20
	s_waitcnt_depctr 0xfff
	v_fma_f32 v22, -v20, v21, 1.0
	s_waitcnt lgkmcnt(2)
	v_dual_fmac_f32 v21, v22, v21 :: v_dual_mul_f32 v22, v15, v8
	v_mul_f32_e64 v15, v15, -v9
	s_delay_alu instid0(VALU_DEP_2) | instskip(NEXT) | instid1(VALU_DEP_3)
	v_mul_f32_e32 v24, v23, v21
	v_fmac_f32_e32 v22, v9, v14
	s_waitcnt lgkmcnt(1)
	v_mul_f32_e64 v9, v17, -v6
	v_fmac_f32_e32 v15, v8, v14
	v_mul_f32_e32 v25, v17, v5
	v_fma_f32 v8, -v20, v24, v23
	s_delay_alu instid0(VALU_DEP_4) | instskip(SKIP_2) | instid1(VALU_DEP_3)
	v_fmac_f32_e32 v9, v5, v16
	s_waitcnt lgkmcnt(0)
	v_sub_f32_e32 v5, v18, v15
	v_dual_fmac_f32 v25, v6, v16 :: v_dual_fmac_f32 v24, v8, v21
	v_sub_f32_e32 v6, v19, v22
	s_delay_alu instid0(VALU_DEP_2) | instskip(NEXT) | instid1(VALU_DEP_1)
	v_fma_f32 v8, -v20, v24, v23
	v_div_fmas_f32 v8, v8, v21, v24
	s_delay_alu instid0(VALU_DEP_1) | instskip(SKIP_2) | instid1(VALU_DEP_1)
	v_div_fixup_f32 v8, v8, v12, 1.0
	v_sub_f32_e32 v5, v5, v9
	v_sub_f32_e32 v6, v6, v25
	v_mul_f32_e32 v9, v11, v6
	s_delay_alu instid0(VALU_DEP_3) | instskip(NEXT) | instid1(VALU_DEP_2)
	v_mul_f32_e64 v11, v11, -v5
	v_fmac_f32_e32 v9, v5, v10
	s_delay_alu instid0(VALU_DEP_2) | instskip(NEXT) | instid1(VALU_DEP_2)
	v_fmac_f32_e32 v11, v6, v10
	v_mul_f32_e32 v5, v8, v9
	s_delay_alu instid0(VALU_DEP_2)
	v_mul_f32_e32 v6, v8, v11
.LBB50_35:
	s_and_not1_saveexec_b32 s2, s2
	s_cbranch_execz .LBB50_37
; %bb.36:
	v_add_nc_u32_e32 v5, 24, v7
	ds_load_b64 v[14:15], v7 offset:16408
	ds_load_2addr_stride64_b64 v[8:11], v5 offset0:8 offset1:16
	ds_load_b64 v[5:6], v7 offset:12344
	s_waitcnt lgkmcnt(1)
	v_mul_f32_e32 v12, v9, v9
	s_waitcnt lgkmcnt(0)
	v_mul_f32_e32 v20, v6, v10
	v_mul_f32_e64 v6, v6, -v11
	s_delay_alu instid0(VALU_DEP_3) | instskip(NEXT) | instid1(VALU_DEP_3)
	v_fmac_f32_e32 v12, v8, v8
	v_fmac_f32_e32 v20, v11, v5
	s_delay_alu instid0(VALU_DEP_3) | instskip(NEXT) | instid1(VALU_DEP_3)
	v_fmac_f32_e32 v6, v10, v5
	v_div_scale_f32 v16, null, v12, v12, 1.0
	s_delay_alu instid0(VALU_DEP_2) | instskip(NEXT) | instid1(VALU_DEP_2)
	v_dual_sub_f32 v5, v15, v20 :: v_dual_sub_f32 v6, v14, v6
	v_rcp_f32_e32 v17, v16
	s_delay_alu instid0(VALU_DEP_1) | instskip(NEXT) | instid1(VALU_DEP_2)
	v_mul_f32_e32 v11, v9, v5
	v_mul_f32_e64 v9, v9, -v6
	s_delay_alu instid0(VALU_DEP_2) | instskip(NEXT) | instid1(VALU_DEP_2)
	v_fmac_f32_e32 v11, v6, v8
	v_fmac_f32_e32 v9, v5, v8
	s_waitcnt_depctr 0xfff
	v_fma_f32 v18, -v16, v17, 1.0
	s_delay_alu instid0(VALU_DEP_1) | instskip(SKIP_1) | instid1(VALU_DEP_1)
	v_fmac_f32_e32 v17, v18, v17
	v_div_scale_f32 v19, vcc_lo, 1.0, v12, 1.0
	v_mul_f32_e32 v18, v19, v17
	s_delay_alu instid0(VALU_DEP_1) | instskip(NEXT) | instid1(VALU_DEP_1)
	v_fma_f32 v21, -v16, v18, v19
	v_fmac_f32_e32 v18, v21, v17
	s_delay_alu instid0(VALU_DEP_1) | instskip(NEXT) | instid1(VALU_DEP_1)
	v_fma_f32 v10, -v16, v18, v19
	v_div_fmas_f32 v10, v10, v17, v18
	s_delay_alu instid0(VALU_DEP_1) | instskip(NEXT) | instid1(VALU_DEP_1)
	v_div_fixup_f32 v6, v10, v12, 1.0
	v_dual_mul_f32 v5, v6, v11 :: v_dual_mul_f32 v6, v9, v6
.LBB50_37:
	s_or_b32 exec_lo, exec_lo, s2
	ds_store_b64 v7, v[5:6] offset:12312
.LBB50_38:
	s_or_b32 exec_lo, exec_lo, s3
	s_waitcnt lgkmcnt(0)
	s_barrier
	buffer_gl0_inv
	s_and_saveexec_b32 s2, s1
	s_cbranch_execz .LBB50_44
; %bb.39:
	v_lshlrev_b32_e32 v5, 2, v0
	s_mov_b32 s1, exec_lo
                                        ; implicit-def: $vgpr6
	s_delay_alu instid0(VALU_DEP_1)
	v_lshlrev_b32_e32 v7, 3, v5
	v_cmpx_ne_u32_e32 0, v0
	s_xor_b32 s1, exec_lo, s1
	s_cbranch_execz .LBB50_41
; %bb.40:
	s_delay_alu instid0(VALU_DEP_2)
	v_add_nc_u32_e32 v5, 8, v7
	ds_load_2addr_stride64_b64 v[8:11], v5 offset1:8
	v_add_nc_u32_e32 v5, 0x2c00, v7
	ds_load_2addr_b64 v[14:17], v5 offset0:127 offset1:131
	ds_load_b64 v[5:6], v7 offset:8200
	ds_load_b64 v[18:19], v7 offset:16392
	s_waitcnt lgkmcnt(3)
	v_mul_f32_e32 v12, v11, v11
	s_delay_alu instid0(VALU_DEP_1) | instskip(NEXT) | instid1(VALU_DEP_1)
	v_fmac_f32_e32 v12, v10, v10
	v_div_scale_f32 v20, null, v12, v12, 1.0
	v_div_scale_f32 v23, vcc_lo, 1.0, v12, 1.0
	s_delay_alu instid0(VALU_DEP_2) | instskip(SKIP_3) | instid1(VALU_DEP_1)
	v_rcp_f32_e32 v21, v20
	s_waitcnt_depctr 0xfff
	v_fma_f32 v22, -v20, v21, 1.0
	s_waitcnt lgkmcnt(2)
	v_dual_fmac_f32 v21, v22, v21 :: v_dual_mul_f32 v22, v15, v8
	v_mul_f32_e64 v15, v15, -v9
	s_delay_alu instid0(VALU_DEP_2) | instskip(NEXT) | instid1(VALU_DEP_3)
	v_mul_f32_e32 v24, v23, v21
	v_fmac_f32_e32 v22, v9, v14
	s_waitcnt lgkmcnt(1)
	v_mul_f32_e64 v9, v17, -v6
	v_fmac_f32_e32 v15, v8, v14
	v_mul_f32_e32 v25, v17, v5
	v_fma_f32 v8, -v20, v24, v23
	s_delay_alu instid0(VALU_DEP_4) | instskip(SKIP_2) | instid1(VALU_DEP_3)
	v_fmac_f32_e32 v9, v5, v16
	s_waitcnt lgkmcnt(0)
	v_sub_f32_e32 v5, v18, v15
	v_dual_fmac_f32 v25, v6, v16 :: v_dual_fmac_f32 v24, v8, v21
	v_sub_f32_e32 v6, v19, v22
	s_delay_alu instid0(VALU_DEP_2) | instskip(NEXT) | instid1(VALU_DEP_1)
	v_fma_f32 v8, -v20, v24, v23
	v_div_fmas_f32 v8, v8, v21, v24
	s_delay_alu instid0(VALU_DEP_1) | instskip(SKIP_2) | instid1(VALU_DEP_1)
	v_div_fixup_f32 v8, v8, v12, 1.0
	v_sub_f32_e32 v5, v5, v9
	v_sub_f32_e32 v6, v6, v25
	v_mul_f32_e32 v9, v11, v6
	s_delay_alu instid0(VALU_DEP_3) | instskip(NEXT) | instid1(VALU_DEP_2)
	v_mul_f32_e64 v11, v11, -v5
	v_fmac_f32_e32 v9, v5, v10
	s_delay_alu instid0(VALU_DEP_2) | instskip(NEXT) | instid1(VALU_DEP_2)
	v_fmac_f32_e32 v11, v6, v10
	v_mul_f32_e32 v5, v8, v9
	s_delay_alu instid0(VALU_DEP_2)
	v_mul_f32_e32 v6, v8, v11
.LBB50_41:
	s_and_not1_saveexec_b32 s1, s1
	s_cbranch_execz .LBB50_43
; %bb.42:
	v_add_nc_u32_e32 v5, 8, v7
	ds_load_b64 v[14:15], v7 offset:16392
	ds_load_2addr_stride64_b64 v[8:11], v5 offset0:8 offset1:16
	ds_load_b64 v[5:6], v7 offset:12312
	s_waitcnt lgkmcnt(1)
	v_mul_f32_e32 v12, v9, v9
	s_waitcnt lgkmcnt(0)
	v_mul_f32_e32 v20, v6, v10
	v_mul_f32_e64 v6, v6, -v11
	s_delay_alu instid0(VALU_DEP_3) | instskip(NEXT) | instid1(VALU_DEP_3)
	v_fmac_f32_e32 v12, v8, v8
	v_fmac_f32_e32 v20, v11, v5
	s_delay_alu instid0(VALU_DEP_3) | instskip(NEXT) | instid1(VALU_DEP_3)
	v_fmac_f32_e32 v6, v10, v5
	v_div_scale_f32 v16, null, v12, v12, 1.0
	s_delay_alu instid0(VALU_DEP_2) | instskip(NEXT) | instid1(VALU_DEP_2)
	v_dual_sub_f32 v5, v15, v20 :: v_dual_sub_f32 v6, v14, v6
	v_rcp_f32_e32 v17, v16
	s_delay_alu instid0(VALU_DEP_1) | instskip(NEXT) | instid1(VALU_DEP_2)
	v_mul_f32_e32 v11, v9, v5
	v_mul_f32_e64 v9, v9, -v6
	s_delay_alu instid0(VALU_DEP_2) | instskip(NEXT) | instid1(VALU_DEP_2)
	v_fmac_f32_e32 v11, v6, v8
	v_fmac_f32_e32 v9, v5, v8
	s_waitcnt_depctr 0xfff
	v_fma_f32 v18, -v16, v17, 1.0
	s_delay_alu instid0(VALU_DEP_1) | instskip(SKIP_1) | instid1(VALU_DEP_1)
	v_fmac_f32_e32 v17, v18, v17
	v_div_scale_f32 v19, vcc_lo, 1.0, v12, 1.0
	v_mul_f32_e32 v18, v19, v17
	s_delay_alu instid0(VALU_DEP_1) | instskip(NEXT) | instid1(VALU_DEP_1)
	v_fma_f32 v21, -v16, v18, v19
	v_fmac_f32_e32 v18, v21, v17
	s_delay_alu instid0(VALU_DEP_1) | instskip(NEXT) | instid1(VALU_DEP_1)
	v_fma_f32 v10, -v16, v18, v19
	v_div_fmas_f32 v10, v10, v17, v18
	s_delay_alu instid0(VALU_DEP_1) | instskip(NEXT) | instid1(VALU_DEP_1)
	v_div_fixup_f32 v6, v10, v12, 1.0
	v_dual_mul_f32 v5, v6, v11 :: v_dual_mul_f32 v6, v9, v6
.LBB50_43:
	s_or_b32 exec_lo, exec_lo, s1
	ds_store_b64 v7, v[5:6] offset:12296
.LBB50_44:
	s_or_b32 exec_lo, exec_lo, s2
	s_waitcnt lgkmcnt(0)
	s_barrier
	buffer_gl0_inv
	s_and_saveexec_b32 s1, s0
	s_cbranch_execz .LBB50_50
; %bb.45:
	v_lshlrev_b32_e32 v5, 1, v0
	v_cmp_ne_u32_e32 vcc_lo, 0, v0
                                        ; implicit-def: $vgpr6
	s_delay_alu instid0(VALU_DEP_2) | instskip(SKIP_1) | instid1(SALU_CYCLE_1)
	v_lshlrev_b32_e32 v0, 3, v5
	s_and_saveexec_b32 s0, vcc_lo
	s_xor_b32 s0, exec_lo, s0
	s_cbranch_execz .LBB50_47
; %bb.46:
	ds_load_2addr_stride64_b64 v[5:8], v0 offset1:8
	v_add_nc_u32_e32 v9, 0x2c00, v0
	ds_load_2addr_b64 v[9:12], v9 offset0:127 offset1:129
	ds_load_b64 v[14:15], v0 offset:8192
	ds_load_b64 v[16:17], v0 offset:16384
	s_waitcnt lgkmcnt(3)
	v_mul_f32_e32 v18, v8, v8
	s_delay_alu instid0(VALU_DEP_1) | instskip(SKIP_2) | instid1(VALU_DEP_2)
	v_fmac_f32_e32 v18, v7, v7
	s_waitcnt lgkmcnt(1)
	v_mul_f32_e32 v24, v12, v14
	v_div_scale_f32 v19, null, v18, v18, 1.0
	v_div_scale_f32 v22, vcc_lo, 1.0, v18, 1.0
	s_delay_alu instid0(VALU_DEP_2) | instskip(SKIP_2) | instid1(VALU_DEP_1)
	v_rcp_f32_e32 v20, v19
	s_waitcnt_depctr 0xfff
	v_fma_f32 v21, -v19, v20, 1.0
	v_dual_fmac_f32 v20, v21, v20 :: v_dual_mul_f32 v21, v10, v5
	v_mul_f32_e64 v10, v10, -v6
	s_delay_alu instid0(VALU_DEP_2) | instskip(NEXT) | instid1(VALU_DEP_3)
	v_fmac_f32_e32 v21, v6, v9
	v_mul_f32_e32 v23, v22, v20
	v_mul_f32_e64 v6, v12, -v15
	s_delay_alu instid0(VALU_DEP_4) | instskip(SKIP_3) | instid1(VALU_DEP_2)
	v_fmac_f32_e32 v10, v5, v9
	s_waitcnt lgkmcnt(0)
	v_dual_fmac_f32 v24, v15, v11 :: v_dual_sub_f32 v9, v17, v21
	v_fma_f32 v5, -v19, v23, v22
	v_dual_fmac_f32 v6, v14, v11 :: v_dual_sub_f32 v9, v9, v24
	s_delay_alu instid0(VALU_DEP_2) | instskip(SKIP_1) | instid1(VALU_DEP_2)
	v_fmac_f32_e32 v23, v5, v20
	v_sub_f32_e32 v5, v16, v10
	v_fma_f32 v10, -v19, v23, v22
	s_delay_alu instid0(VALU_DEP_2) | instskip(NEXT) | instid1(VALU_DEP_2)
	v_dual_sub_f32 v5, v5, v6 :: v_dual_mul_f32 v6, v8, v9
	v_div_fmas_f32 v10, v10, v20, v23
	s_delay_alu instid0(VALU_DEP_2) | instskip(NEXT) | instid1(VALU_DEP_3)
	v_mul_f32_e64 v8, v8, -v5
	v_fmac_f32_e32 v6, v5, v7
	s_delay_alu instid0(VALU_DEP_3) | instskip(NEXT) | instid1(VALU_DEP_1)
	v_div_fixup_f32 v10, v10, v18, 1.0
	v_dual_fmac_f32 v8, v9, v7 :: v_dual_mul_f32 v5, v10, v6
	s_delay_alu instid0(VALU_DEP_1)
	v_mul_f32_e32 v6, v10, v8
.LBB50_47:
	s_and_not1_saveexec_b32 s0, s0
	s_cbranch_execz .LBB50_49
; %bb.48:
	ds_load_2addr_stride64_b64 v[5:8], v0 offset0:8 offset1:16
	ds_load_b64 v[9:10], v0 offset:12296
	ds_load_b64 v[11:12], v0 offset:16384
	s_waitcnt lgkmcnt(1)
	v_mul_f32_e32 v19, v10, v7
	v_mul_f32_e64 v10, v10, -v8
	s_delay_alu instid0(VALU_DEP_1) | instskip(NEXT) | instid1(VALU_DEP_3)
	v_fmac_f32_e32 v10, v7, v9
	v_dual_mul_f32 v14, v6, v6 :: v_dual_fmac_f32 v19, v8, v9
	s_waitcnt lgkmcnt(0)
	s_delay_alu instid0(VALU_DEP_1) | instskip(NEXT) | instid1(VALU_DEP_2)
	v_dual_sub_f32 v9, v11, v10 :: v_dual_fmac_f32 v14, v5, v5
	v_sub_f32_e32 v7, v12, v19
	s_delay_alu instid0(VALU_DEP_2) | instskip(SKIP_1) | instid1(VALU_DEP_3)
	v_div_scale_f32 v15, null, v14, v14, 1.0
	v_div_scale_f32 v18, vcc_lo, 1.0, v14, 1.0
	v_mul_f32_e32 v10, v6, v7
	s_delay_alu instid0(VALU_DEP_3) | instskip(SKIP_3) | instid1(VALU_DEP_1)
	v_rcp_f32_e32 v16, v15
	v_mul_f32_e64 v6, v6, -v9
	s_waitcnt_depctr 0xfff
	v_fma_f32 v17, -v15, v16, 1.0
	v_fmac_f32_e32 v16, v17, v16
	s_delay_alu instid0(VALU_DEP_1) | instskip(NEXT) | instid1(VALU_DEP_1)
	v_mul_f32_e32 v17, v18, v16
	v_fma_f32 v20, -v15, v17, v18
	s_delay_alu instid0(VALU_DEP_1) | instskip(NEXT) | instid1(VALU_DEP_1)
	v_fmac_f32_e32 v17, v20, v16
	v_fma_f32 v8, -v15, v17, v18
	s_delay_alu instid0(VALU_DEP_1) | instskip(NEXT) | instid1(VALU_DEP_1)
	v_div_fmas_f32 v8, v8, v16, v17
	v_div_fixup_f32 v8, v8, v14, 1.0
	v_fmac_f32_e32 v6, v7, v5
	s_delay_alu instid0(VALU_DEP_1) | instskip(SKIP_1) | instid1(VALU_DEP_1)
	v_mul_f32_e32 v6, v6, v8
	v_fmac_f32_e32 v10, v9, v5
	v_mul_f32_e32 v5, v8, v10
.LBB50_49:
	s_or_b32 exec_lo, exec_lo, s0
	ds_store_b64 v0, v[5:6] offset:12288
.LBB50_50:
	s_or_b32 exec_lo, exec_lo, s1
	s_waitcnt lgkmcnt(0)
	s_barrier
	buffer_gl0_inv
	ds_load_2addr_stride64_b64 v[5:8], v13 offset0:24 offset1:28
	s_waitcnt lgkmcnt(0)
	s_clause 0x1
	global_store_b64 v[1:2], v[5:6], off
	global_store_b64 v[3:4], v[7:8], off
	s_nop 0
	s_sendmsg sendmsg(MSG_DEALLOC_VGPRS)
	s_endpgm
	.section	.rodata,"a",@progbits
	.p2align	6, 0x0
	.amdhsa_kernel _ZN9rocsparseL51gtsv_nopivot_strided_batch_crpcr_pow2_shared_kernelILj256ELj64E21rocsparse_complex_numIfEEEviiiPKT1_S5_S5_PS3_
		.amdhsa_group_segment_fixed_size 23040
		.amdhsa_private_segment_fixed_size 0
		.amdhsa_kernarg_size 48
		.amdhsa_user_sgpr_count 15
		.amdhsa_user_sgpr_dispatch_ptr 0
		.amdhsa_user_sgpr_queue_ptr 0
		.amdhsa_user_sgpr_kernarg_segment_ptr 1
		.amdhsa_user_sgpr_dispatch_id 0
		.amdhsa_user_sgpr_private_segment_size 0
		.amdhsa_wavefront_size32 1
		.amdhsa_uses_dynamic_stack 0
		.amdhsa_enable_private_segment 0
		.amdhsa_system_sgpr_workgroup_id_x 1
		.amdhsa_system_sgpr_workgroup_id_y 0
		.amdhsa_system_sgpr_workgroup_id_z 0
		.amdhsa_system_sgpr_workgroup_info 0
		.amdhsa_system_vgpr_workitem_id 0
		.amdhsa_next_free_vgpr 47
		.amdhsa_next_free_sgpr 16
		.amdhsa_reserve_vcc 1
		.amdhsa_float_round_mode_32 0
		.amdhsa_float_round_mode_16_64 0
		.amdhsa_float_denorm_mode_32 3
		.amdhsa_float_denorm_mode_16_64 3
		.amdhsa_dx10_clamp 1
		.amdhsa_ieee_mode 1
		.amdhsa_fp16_overflow 0
		.amdhsa_workgroup_processor_mode 1
		.amdhsa_memory_ordered 1
		.amdhsa_forward_progress 0
		.amdhsa_shared_vgpr_count 0
		.amdhsa_exception_fp_ieee_invalid_op 0
		.amdhsa_exception_fp_denorm_src 0
		.amdhsa_exception_fp_ieee_div_zero 0
		.amdhsa_exception_fp_ieee_overflow 0
		.amdhsa_exception_fp_ieee_underflow 0
		.amdhsa_exception_fp_ieee_inexact 0
		.amdhsa_exception_int_div_zero 0
	.end_amdhsa_kernel
	.section	.text._ZN9rocsparseL51gtsv_nopivot_strided_batch_crpcr_pow2_shared_kernelILj256ELj64E21rocsparse_complex_numIfEEEviiiPKT1_S5_S5_PS3_,"axG",@progbits,_ZN9rocsparseL51gtsv_nopivot_strided_batch_crpcr_pow2_shared_kernelILj256ELj64E21rocsparse_complex_numIfEEEviiiPKT1_S5_S5_PS3_,comdat
.Lfunc_end50:
	.size	_ZN9rocsparseL51gtsv_nopivot_strided_batch_crpcr_pow2_shared_kernelILj256ELj64E21rocsparse_complex_numIfEEEviiiPKT1_S5_S5_PS3_, .Lfunc_end50-_ZN9rocsparseL51gtsv_nopivot_strided_batch_crpcr_pow2_shared_kernelILj256ELj64E21rocsparse_complex_numIfEEEviiiPKT1_S5_S5_PS3_
                                        ; -- End function
	.section	.AMDGPU.csdata,"",@progbits
; Kernel info:
; codeLenInByte = 7808
; NumSgprs: 18
; NumVgprs: 47
; ScratchSize: 0
; MemoryBound: 0
; FloatMode: 240
; IeeeMode: 1
; LDSByteSize: 23040 bytes/workgroup (compile time only)
; SGPRBlocks: 2
; VGPRBlocks: 5
; NumSGPRsForWavesPerEU: 18
; NumVGPRsForWavesPerEU: 47
; Occupancy: 10
; WaveLimiterHint : 0
; COMPUTE_PGM_RSRC2:SCRATCH_EN: 0
; COMPUTE_PGM_RSRC2:USER_SGPR: 15
; COMPUTE_PGM_RSRC2:TRAP_HANDLER: 0
; COMPUTE_PGM_RSRC2:TGID_X_EN: 1
; COMPUTE_PGM_RSRC2:TGID_Y_EN: 0
; COMPUTE_PGM_RSRC2:TGID_Z_EN: 0
; COMPUTE_PGM_RSRC2:TIDIG_COMP_CNT: 0
	.section	.text._ZN9rocsparseL44gtsv_nopivot_strided_batch_pcr_shared_kernelILj4E21rocsparse_complex_numIfEEEviiiPKT0_S5_S5_PS3_,"axG",@progbits,_ZN9rocsparseL44gtsv_nopivot_strided_batch_pcr_shared_kernelILj4E21rocsparse_complex_numIfEEEviiiPKT0_S5_S5_PS3_,comdat
	.globl	_ZN9rocsparseL44gtsv_nopivot_strided_batch_pcr_shared_kernelILj4E21rocsparse_complex_numIfEEEviiiPKT0_S5_S5_PS3_ ; -- Begin function _ZN9rocsparseL44gtsv_nopivot_strided_batch_pcr_shared_kernelILj4E21rocsparse_complex_numIfEEEviiiPKT0_S5_S5_PS3_
	.p2align	8
	.type	_ZN9rocsparseL44gtsv_nopivot_strided_batch_pcr_shared_kernelILj4E21rocsparse_complex_numIfEEEviiiPKT0_S5_S5_PS3_,@function
_ZN9rocsparseL44gtsv_nopivot_strided_batch_pcr_shared_kernelILj4E21rocsparse_complex_numIfEEEviiiPKT0_S5_S5_PS3_: ; @_ZN9rocsparseL44gtsv_nopivot_strided_batch_pcr_shared_kernelILj4E21rocsparse_complex_numIfEEEviiiPKT0_S5_S5_PS3_
; %bb.0:
	s_clause 0x1
	s_load_b32 s2, s[0:1], 0x8
	s_load_b32 s3, s[0:1], 0x0
	v_dual_mov_b32 v4, 0 :: v_dual_mov_b32 v7, 0
	v_mov_b32_e32 v6, 0
	s_waitcnt lgkmcnt(0)
	v_mad_u64_u32 v[1:2], null, s15, s2, v[0:1]
	v_cmp_gt_i32_e64 s2, s3, v0
	s_delay_alu instid0(VALU_DEP_2) | instskip(NEXT) | instid1(VALU_DEP_2)
	v_ashrrev_i32_e32 v2, 31, v1
	s_and_saveexec_b32 s4, s2
	s_cbranch_execz .LBB51_2
; %bb.1:
	s_load_b64 s[6:7], s[0:1], 0x10
	s_delay_alu instid0(VALU_DEP_1) | instskip(SKIP_1) | instid1(VALU_DEP_1)
	v_lshlrev_b64 v[5:6], 3, v[1:2]
	s_waitcnt lgkmcnt(0)
	v_add_co_u32 v5, vcc_lo, s6, v5
	s_delay_alu instid0(VALU_DEP_2)
	v_add_co_ci_u32_e32 v6, vcc_lo, s7, v6, vcc_lo
	global_load_b64 v[6:7], v[5:6], off
.LBB51_2:
	s_or_b32 exec_lo, exec_lo, s4
	v_dual_mov_b32 v5, 0 :: v_dual_lshlrev_b32 v8, 3, v0
	s_waitcnt vmcnt(0)
	ds_store_b64 v8, v[6:7]
	s_and_saveexec_b32 s4, s2
	s_cbranch_execz .LBB51_4
; %bb.3:
	s_load_b64 s[6:7], s[0:1], 0x18
	v_lshlrev_b64 v[3:4], 3, v[1:2]
	s_waitcnt lgkmcnt(0)
	s_delay_alu instid0(VALU_DEP_1) | instskip(NEXT) | instid1(VALU_DEP_2)
	v_add_co_u32 v3, vcc_lo, s6, v3
	v_add_co_ci_u32_e32 v4, vcc_lo, s7, v4, vcc_lo
	global_load_b64 v[4:5], v[3:4], off
.LBB51_4:
	s_or_b32 exec_lo, exec_lo, s4
	s_load_b64 s[4:5], s[0:1], 0x28
	v_dual_mov_b32 v3, 0 :: v_dual_mov_b32 v6, 0
	v_mov_b32_e32 v7, 0
	s_waitcnt vmcnt(0)
	ds_store_b64 v8, v[4:5] offset:32
	s_and_saveexec_b32 s6, s2
	s_cbranch_execz .LBB51_6
; %bb.5:
	s_load_b64 s[0:1], s[0:1], 0x20
	v_lshlrev_b64 v[4:5], 3, v[1:2]
	s_waitcnt lgkmcnt(0)
	s_delay_alu instid0(VALU_DEP_1) | instskip(NEXT) | instid1(VALU_DEP_2)
	v_add_co_u32 v4, vcc_lo, s0, v4
	v_add_co_ci_u32_e32 v5, vcc_lo, s1, v5, vcc_lo
	global_load_b64 v[6:7], v[4:5], off
.LBB51_6:
	s_or_b32 exec_lo, exec_lo, s6
	v_or_b32_e32 v9, 32, v8
	v_or_b32_e32 v5, 64, v8
	v_mov_b32_e32 v4, 0
	s_waitcnt vmcnt(0)
	ds_store_b64 v8, v[6:7] offset:64
	s_and_saveexec_b32 s0, s2
	s_cbranch_execz .LBB51_8
; %bb.7:
	v_lshlrev_b64 v[3:4], 3, v[1:2]
	s_waitcnt lgkmcnt(0)
	s_delay_alu instid0(VALU_DEP_1) | instskip(NEXT) | instid1(VALU_DEP_2)
	v_add_co_u32 v3, vcc_lo, s4, v3
	v_add_co_ci_u32_e32 v4, vcc_lo, s5, v4, vcc_lo
	global_load_b64 v[3:4], v[3:4], off
.LBB51_8:
	s_or_b32 exec_lo, exec_lo, s0
	v_add_nc_u32_e32 v6, 1, v0
	s_add_i32 s0, s3, -1
	v_max_u32_e32 v7, 1, v0
	s_waitcnt vmcnt(0)
	ds_store_b64 v8, v[3:4] offset:128
	s_waitcnt lgkmcnt(0)
	v_cmp_gt_i32_e32 vcc_lo, s3, v6
	; wave barrier
	buffer_gl0_inv
	v_lshlrev_b32_e32 v18, 3, v7
	v_cmp_gt_u32_e64 s1, 2, v0
	v_cndmask_b32_e32 v6, s0, v6, vcc_lo
	s_delay_alu instid0(VALU_DEP_1)
	v_lshlrev_b32_e32 v19, 3, v6
	ds_load_2addr_b64 v[10:13], v18 offset0:3 offset1:7
	ds_load_2addr_b64 v[14:17], v19 offset1:4
	ds_load_b64 v[3:4], v8
	ds_load_b64 v[22:23], v9
	s_waitcnt lgkmcnt(2)
	v_dual_mul_f32 v30, v11, v11 :: v_dual_mul_f32 v31, v17, v17
	s_delay_alu instid0(VALU_DEP_1) | instskip(NEXT) | instid1(VALU_DEP_1)
	v_fmac_f32_e32 v31, v16, v16
	v_div_scale_f32 v33, null, v31, v31, 1.0
	v_div_scale_f32 v37, s0, 1.0, v31, 1.0
	s_delay_alu instid0(VALU_DEP_2) | instskip(SKIP_2) | instid1(VALU_DEP_1)
	v_rcp_f32_e32 v35, v33
	s_waitcnt_depctr 0xfff
	v_fma_f32 v7, -v33, v35, 1.0
	v_dual_fmac_f32 v30, v10, v10 :: v_dual_fmac_f32 v35, v7, v35
	s_delay_alu instid0(VALU_DEP_1) | instskip(SKIP_1) | instid1(VALU_DEP_3)
	v_div_scale_f32 v32, null, v30, v30, 1.0
	v_div_scale_f32 v36, vcc_lo, 1.0, v30, 1.0
	v_mul_f32_e32 v39, v37, v35
	s_delay_alu instid0(VALU_DEP_3) | instskip(NEXT) | instid1(VALU_DEP_1)
	v_rcp_f32_e32 v34, v32
	v_fma_f32 v40, -v33, v39, v37
	s_delay_alu instid0(VALU_DEP_1)
	v_dual_fmac_f32 v39, v40, v35 :: v_dual_add_nc_u32 v20, -8, v18
	s_waitcnt_depctr 0xfff
	v_fma_f32 v6, -v32, v34, 1.0
	ds_load_b64 v[24:25], v20
	v_fma_f32 v33, -v33, v39, v37
	v_fmac_f32_e32 v34, v6, v34
	ds_load_b64 v[6:7], v5
	s_waitcnt lgkmcnt(3)
	v_mul_f32_e64 v41, v11, -v3
	v_mul_f32_e32 v11, v11, v4
	ds_load_b64 v[26:27], v18 offset:120
	ds_load_b64 v[28:29], v8 offset:128
	v_mul_f32_e32 v38, v36, v34
	v_fmac_f32_e32 v41, v4, v10
	s_delay_alu instid0(VALU_DEP_2) | instskip(NEXT) | instid1(VALU_DEP_1)
	v_fma_f32 v20, -v32, v38, v36
	v_fmac_f32_e32 v38, v20, v34
	ds_load_2addr_b64 v[18:21], v19 offset0:8 offset1:16
	s_waitcnt vmcnt(0) lgkmcnt(0)
	s_waitcnt_vscnt null, 0x0
	; wave barrier
	s_waitcnt lgkmcnt(0)
	buffer_gl0_inv
	v_fma_f32 v4, -v32, v38, v36
	v_mul_f32_e32 v32, v17, v7
	v_mul_f32_e64 v17, v17, -v6
	v_fmac_f32_e32 v11, v3, v10
	s_delay_alu instid0(VALU_DEP_4) | instskip(NEXT) | instid1(VALU_DEP_4)
	v_div_fmas_f32 v4, v4, v34, v38
	v_fmac_f32_e32 v32, v6, v16
	s_mov_b32 vcc_lo, s0
	v_fmac_f32_e32 v17, v7, v16
	v_div_fmas_f32 v33, v33, v35, v39
	v_div_fixup_f32 v4, v4, v30, 1.0
	s_delay_alu instid0(VALU_DEP_2) | instskip(NEXT) | instid1(VALU_DEP_1)
	v_div_fixup_f32 v3, v33, v31, 1.0
	v_mul_f32_e32 v10, v17, v3
	s_delay_alu instid0(VALU_DEP_3) | instskip(SKIP_1) | instid1(VALU_DEP_2)
	v_mul_f32_e32 v6, v41, v4
	v_dual_mul_f32 v4, v4, v11 :: v_dual_mul_f32 v7, v3, v32
	v_mul_f32_e32 v16, v6, v12
	v_mul_f32_e64 v11, v6, -v13
	s_delay_alu instid0(VALU_DEP_2)
	v_dual_fmac_f32 v16, v13, v4 :: v_dual_mul_f32 v13, v10, v14
	v_mul_f32_e64 v17, v6, -v27
	v_mul_f32_e32 v30, v6, v26
	v_mul_f32_e32 v3, v6, v25
	v_fmac_f32_e32 v11, v12, v4
	v_mul_f32_e64 v6, v6, -v24
	v_fmac_f32_e32 v17, v26, v4
	v_mul_f32_e64 v26, v10, -v21
	v_fmac_f32_e32 v13, v15, v7
	v_sub_f32_e32 v16, v23, v16
	v_fmac_f32_e32 v30, v27, v4
	v_mul_f32_e64 v12, v10, -v15
	v_dual_fmac_f32 v26, v20, v7 :: v_dual_mul_f32 v27, v10, v20
	v_fma_f32 v3, -v24, v4, v3
	v_fma_f32 v4, -v25, v4, v6
	v_mul_f32_e32 v6, v10, v19
	v_mul_f32_e64 v24, v10, -v18
	v_sub_f32_e32 v10, v28, v17
	v_sub_f32_e32 v22, v22, v11
	v_fmac_f32_e32 v27, v21, v7
	v_sub_f32_e32 v13, v16, v13
	v_dual_sub_f32 v11, v29, v30 :: v_dual_fmac_f32 v12, v14, v7
	v_sub_f32_e32 v10, v10, v26
	v_fma_f32 v6, -v18, v7, v6
	v_fma_f32 v7, -v19, v7, v24
	s_delay_alu instid0(VALU_DEP_4)
	v_dual_sub_f32 v11, v11, v27 :: v_dual_sub_f32 v12, v22, v12
	ds_store_b64 v8, v[10:11] offset:128
	ds_store_b64 v8, v[3:4]
	ds_store_b64 v9, v[12:13]
	;; [unrolled: 1-line block ×3, first 2 shown]
	s_waitcnt vmcnt(0) lgkmcnt(0)
	s_waitcnt_vscnt null, 0x0
	; wave barrier
	s_waitcnt lgkmcnt(0)
	buffer_gl0_inv
	s_and_saveexec_b32 s0, s1
	s_cbranch_execz .LBB51_14
; %bb.9:
	v_or_b32_e32 v6, 2, v0
	v_or_b32_e32 v7, 0x80, v8
	s_mov_b32 s1, exec_lo
                                        ; implicit-def: $vgpr4
	s_delay_alu instid0(VALU_DEP_2)
	v_cmpx_le_i32_e64 s3, v6
	s_xor_b32 s1, exec_lo, s1
	s_cbranch_execz .LBB51_11
; %bb.10:
	ds_load_b64 v[3:4], v9
	s_waitcnt lgkmcnt(0)
	v_mul_f32_e32 v9, v4, v4
	s_delay_alu instid0(VALU_DEP_1) | instskip(NEXT) | instid1(VALU_DEP_1)
	v_fmac_f32_e32 v9, v3, v3
	v_div_scale_f32 v10, null, v9, v9, 1.0
	v_div_scale_f32 v12, vcc_lo, 1.0, v9, 1.0
	s_delay_alu instid0(VALU_DEP_2) | instskip(SKIP_2) | instid1(VALU_DEP_1)
	v_rcp_f32_e32 v11, v10
	s_waitcnt_depctr 0xfff
	v_fma_f32 v5, -v10, v11, 1.0
	v_fmac_f32_e32 v11, v5, v11
	ds_load_b64 v[5:6], v7
	v_mul_f32_e32 v7, v12, v11
	s_delay_alu instid0(VALU_DEP_1) | instskip(NEXT) | instid1(VALU_DEP_1)
	v_fma_f32 v13, -v10, v7, v12
	v_fmac_f32_e32 v7, v13, v11
	s_delay_alu instid0(VALU_DEP_1) | instskip(SKIP_3) | instid1(VALU_DEP_3)
	v_fma_f32 v10, -v10, v7, v12
	s_waitcnt lgkmcnt(0)
	v_mul_f32_e32 v12, v4, v6
	v_mul_f32_e64 v4, v4, -v5
	v_div_fmas_f32 v7, v10, v11, v7
	s_delay_alu instid0(VALU_DEP_3) | instskip(NEXT) | instid1(VALU_DEP_2)
	v_fmac_f32_e32 v12, v5, v3
	v_div_fixup_f32 v5, v7, v9, 1.0
	s_delay_alu instid0(VALU_DEP_4) | instskip(NEXT) | instid1(VALU_DEP_1)
	v_fmac_f32_e32 v4, v6, v3
                                        ; implicit-def: $vgpr9
                                        ; implicit-def: $vgpr7
                                        ; implicit-def: $vgpr6
	v_dual_mul_f32 v3, v5, v12 :: v_dual_mul_f32 v4, v4, v5
                                        ; implicit-def: $vgpr5
.LBB51_11:
	s_and_not1_saveexec_b32 s1, s1
	s_cbranch_execz .LBB51_13
; %bb.12:
	ds_load_2addr_b64 v[9:12], v9 offset1:2
	ds_load_b64 v[3:4], v5
	ds_load_b64 v[17:18], v8 offset:16
	s_waitcnt lgkmcnt(2)
	v_mul_f32_e64 v13, v10, -v12
	s_waitcnt lgkmcnt(0)
	v_mul_f32_e32 v5, v18, v3
	v_mul_f32_e32 v0, v10, v11
	v_mul_f32_e64 v14, v18, -v4
	v_fmac_f32_e32 v13, v11, v9
	s_delay_alu instid0(VALU_DEP_4) | instskip(NEXT) | instid1(VALU_DEP_4)
	v_fmac_f32_e32 v5, v4, v17
	v_fmac_f32_e32 v0, v12, v9
	s_delay_alu instid0(VALU_DEP_1) | instskip(NEXT) | instid1(VALU_DEP_1)
	v_sub_f32_e32 v0, v0, v5
	v_dual_fmac_f32 v14, v3, v17 :: v_dual_mul_f32 v19, v0, v0
	s_delay_alu instid0(VALU_DEP_1)
	v_sub_f32_e32 v5, v13, v14
	ds_load_2addr_b64 v[13:16], v7 offset1:2
	s_waitcnt lgkmcnt(0)
	v_mul_f32_e64 v26, v16, -v4
	v_fmac_f32_e32 v19, v5, v5
	v_mul_f32_e32 v27, v16, v3
	v_mul_f32_e64 v28, v10, -v16
	v_mul_f32_e64 v23, v14, -v12
	v_fmac_f32_e32 v26, v3, v15
	v_div_scale_f32 v20, null, v19, v19, 1.0
	v_div_scale_f32 v22, vcc_lo, 1.0, v19, 1.0
	v_fmac_f32_e32 v27, v4, v15
	s_delay_alu instid0(VALU_DEP_3)
	v_rcp_f32_e32 v21, v20
	v_fma_f32 v4, v5, 0, -v0
	v_dual_mul_f32 v25, v14, v11 :: v_dual_fmac_f32 v28, v15, v9
	v_fma_f32 v0, 0, v0, v5
	v_dual_fmac_f32 v23, v11, v13 :: v_dual_mul_f32 v10, v10, v15
	s_waitcnt_depctr 0xfff
	v_fma_f32 v7, -v20, v21, 1.0
	v_sub_f32_e32 v5, v23, v26
	s_delay_alu instid0(VALU_DEP_2) | instskip(NEXT) | instid1(VALU_DEP_1)
	v_fmac_f32_e32 v21, v7, v21
	v_mul_f32_e32 v7, v22, v21
	s_delay_alu instid0(VALU_DEP_1) | instskip(NEXT) | instid1(VALU_DEP_1)
	v_fma_f32 v24, -v20, v7, v22
	v_fmac_f32_e32 v7, v24, v21
	v_mul_f32_e64 v24, v18, -v14
	v_mul_f32_e32 v18, v18, v13
	s_delay_alu instid0(VALU_DEP_3) | instskip(NEXT) | instid1(VALU_DEP_3)
	v_fma_f32 v11, -v20, v7, v22
	v_fmac_f32_e32 v24, v13, v17
	v_fmac_f32_e32 v10, v16, v9
	s_delay_alu instid0(VALU_DEP_3) | instskip(NEXT) | instid1(VALU_DEP_1)
	v_div_fmas_f32 v3, v11, v21, v7
	v_div_fixup_f32 v3, v3, v19, 1.0
	s_delay_alu instid0(VALU_DEP_1) | instskip(SKIP_2) | instid1(VALU_DEP_1)
	v_mul_f32_e32 v4, v4, v3
	v_mul_f32_e32 v0, v0, v3
	v_fmac_f32_e32 v18, v14, v17
	v_dual_sub_f32 v11, v10, v18 :: v_dual_mul_f32 v10, v5, v4
	v_fmac_f32_e32 v25, v12, v13
	v_sub_f32_e32 v12, v28, v24
	s_delay_alu instid0(VALU_DEP_3) | instskip(NEXT) | instid1(VALU_DEP_3)
	v_mul_f32_e64 v3, v4, -v11
	v_sub_f32_e32 v7, v25, v27
	s_delay_alu instid0(VALU_DEP_2) | instskip(NEXT) | instid1(VALU_DEP_2)
	v_fmac_f32_e32 v3, v12, v0
	v_mul_f32_e64 v9, v4, -v7
	v_mul_f32_e32 v4, v4, v12
	v_fmac_f32_e32 v10, v7, v0
	s_delay_alu instid0(VALU_DEP_3) | instskip(NEXT) | instid1(VALU_DEP_3)
	v_fmac_f32_e32 v9, v5, v0
	v_fmac_f32_e32 v4, v11, v0
	v_mov_b32_e32 v0, v6
	ds_store_b64 v8, v[9:10] offset:96
.LBB51_13:
	s_or_b32 exec_lo, exec_lo, s1
	v_lshlrev_b32_e32 v0, 3, v0
	ds_store_b64 v0, v[3:4] offset:96
.LBB51_14:
	s_or_b32 exec_lo, exec_lo, s0
	s_waitcnt vmcnt(0) lgkmcnt(0)
	s_waitcnt_vscnt null, 0x0
	; wave barrier
	s_waitcnt lgkmcnt(0)
	buffer_gl0_inv
	s_and_saveexec_b32 s0, s2
	s_cbranch_execz .LBB51_16
; %bb.15:
	ds_load_b64 v[3:4], v8 offset:96
	v_lshlrev_b64 v[0:1], 3, v[1:2]
	s_delay_alu instid0(VALU_DEP_1) | instskip(NEXT) | instid1(VALU_DEP_2)
	v_add_co_u32 v0, vcc_lo, s4, v0
	v_add_co_ci_u32_e32 v1, vcc_lo, s5, v1, vcc_lo
	s_waitcnt lgkmcnt(0)
	global_store_b64 v[0:1], v[3:4], off
.LBB51_16:
	s_nop 0
	s_sendmsg sendmsg(MSG_DEALLOC_VGPRS)
	s_endpgm
	.section	.rodata,"a",@progbits
	.p2align	6, 0x0
	.amdhsa_kernel _ZN9rocsparseL44gtsv_nopivot_strided_batch_pcr_shared_kernelILj4E21rocsparse_complex_numIfEEEviiiPKT0_S5_S5_PS3_
		.amdhsa_group_segment_fixed_size 160
		.amdhsa_private_segment_fixed_size 0
		.amdhsa_kernarg_size 48
		.amdhsa_user_sgpr_count 15
		.amdhsa_user_sgpr_dispatch_ptr 0
		.amdhsa_user_sgpr_queue_ptr 0
		.amdhsa_user_sgpr_kernarg_segment_ptr 1
		.amdhsa_user_sgpr_dispatch_id 0
		.amdhsa_user_sgpr_private_segment_size 0
		.amdhsa_wavefront_size32 1
		.amdhsa_uses_dynamic_stack 0
		.amdhsa_enable_private_segment 0
		.amdhsa_system_sgpr_workgroup_id_x 1
		.amdhsa_system_sgpr_workgroup_id_y 0
		.amdhsa_system_sgpr_workgroup_id_z 0
		.amdhsa_system_sgpr_workgroup_info 0
		.amdhsa_system_vgpr_workitem_id 0
		.amdhsa_next_free_vgpr 42
		.amdhsa_next_free_sgpr 16
		.amdhsa_reserve_vcc 1
		.amdhsa_float_round_mode_32 0
		.amdhsa_float_round_mode_16_64 0
		.amdhsa_float_denorm_mode_32 3
		.amdhsa_float_denorm_mode_16_64 3
		.amdhsa_dx10_clamp 1
		.amdhsa_ieee_mode 1
		.amdhsa_fp16_overflow 0
		.amdhsa_workgroup_processor_mode 1
		.amdhsa_memory_ordered 1
		.amdhsa_forward_progress 0
		.amdhsa_shared_vgpr_count 0
		.amdhsa_exception_fp_ieee_invalid_op 0
		.amdhsa_exception_fp_denorm_src 0
		.amdhsa_exception_fp_ieee_div_zero 0
		.amdhsa_exception_fp_ieee_overflow 0
		.amdhsa_exception_fp_ieee_underflow 0
		.amdhsa_exception_fp_ieee_inexact 0
		.amdhsa_exception_int_div_zero 0
	.end_amdhsa_kernel
	.section	.text._ZN9rocsparseL44gtsv_nopivot_strided_batch_pcr_shared_kernelILj4E21rocsparse_complex_numIfEEEviiiPKT0_S5_S5_PS3_,"axG",@progbits,_ZN9rocsparseL44gtsv_nopivot_strided_batch_pcr_shared_kernelILj4E21rocsparse_complex_numIfEEEviiiPKT0_S5_S5_PS3_,comdat
.Lfunc_end51:
	.size	_ZN9rocsparseL44gtsv_nopivot_strided_batch_pcr_shared_kernelILj4E21rocsparse_complex_numIfEEEviiiPKT0_S5_S5_PS3_, .Lfunc_end51-_ZN9rocsparseL44gtsv_nopivot_strided_batch_pcr_shared_kernelILj4E21rocsparse_complex_numIfEEEviiiPKT0_S5_S5_PS3_
                                        ; -- End function
	.section	.AMDGPU.csdata,"",@progbits
; Kernel info:
; codeLenInByte = 1728
; NumSgprs: 18
; NumVgprs: 42
; ScratchSize: 0
; MemoryBound: 0
; FloatMode: 240
; IeeeMode: 1
; LDSByteSize: 160 bytes/workgroup (compile time only)
; SGPRBlocks: 2
; VGPRBlocks: 5
; NumSGPRsForWavesPerEU: 18
; NumVGPRsForWavesPerEU: 42
; Occupancy: 16
; WaveLimiterHint : 0
; COMPUTE_PGM_RSRC2:SCRATCH_EN: 0
; COMPUTE_PGM_RSRC2:USER_SGPR: 15
; COMPUTE_PGM_RSRC2:TRAP_HANDLER: 0
; COMPUTE_PGM_RSRC2:TGID_X_EN: 1
; COMPUTE_PGM_RSRC2:TGID_Y_EN: 0
; COMPUTE_PGM_RSRC2:TGID_Z_EN: 0
; COMPUTE_PGM_RSRC2:TIDIG_COMP_CNT: 0
	.section	.text._ZN9rocsparseL44gtsv_nopivot_strided_batch_pcr_shared_kernelILj8E21rocsparse_complex_numIfEEEviiiPKT0_S5_S5_PS3_,"axG",@progbits,_ZN9rocsparseL44gtsv_nopivot_strided_batch_pcr_shared_kernelILj8E21rocsparse_complex_numIfEEEviiiPKT0_S5_S5_PS3_,comdat
	.globl	_ZN9rocsparseL44gtsv_nopivot_strided_batch_pcr_shared_kernelILj8E21rocsparse_complex_numIfEEEviiiPKT0_S5_S5_PS3_ ; -- Begin function _ZN9rocsparseL44gtsv_nopivot_strided_batch_pcr_shared_kernelILj8E21rocsparse_complex_numIfEEEviiiPKT0_S5_S5_PS3_
	.p2align	8
	.type	_ZN9rocsparseL44gtsv_nopivot_strided_batch_pcr_shared_kernelILj8E21rocsparse_complex_numIfEEEviiiPKT0_S5_S5_PS3_,@function
_ZN9rocsparseL44gtsv_nopivot_strided_batch_pcr_shared_kernelILj8E21rocsparse_complex_numIfEEEviiiPKT0_S5_S5_PS3_: ; @_ZN9rocsparseL44gtsv_nopivot_strided_batch_pcr_shared_kernelILj8E21rocsparse_complex_numIfEEEviiiPKT0_S5_S5_PS3_
; %bb.0:
	s_clause 0x1
	s_load_b32 s2, s[0:1], 0x8
	s_load_b32 s3, s[0:1], 0x0
	v_dual_mov_b32 v4, 0 :: v_dual_mov_b32 v7, 0
	v_mov_b32_e32 v6, 0
	s_waitcnt lgkmcnt(0)
	v_mad_u64_u32 v[1:2], null, s15, s2, v[0:1]
	v_cmp_gt_i32_e64 s2, s3, v0
	s_delay_alu instid0(VALU_DEP_2) | instskip(NEXT) | instid1(VALU_DEP_2)
	v_ashrrev_i32_e32 v2, 31, v1
	s_and_saveexec_b32 s4, s2
	s_cbranch_execz .LBB52_2
; %bb.1:
	s_load_b64 s[6:7], s[0:1], 0x10
	s_delay_alu instid0(VALU_DEP_1) | instskip(SKIP_1) | instid1(VALU_DEP_1)
	v_lshlrev_b64 v[5:6], 3, v[1:2]
	s_waitcnt lgkmcnt(0)
	v_add_co_u32 v5, vcc_lo, s6, v5
	s_delay_alu instid0(VALU_DEP_2)
	v_add_co_ci_u32_e32 v6, vcc_lo, s7, v6, vcc_lo
	global_load_b64 v[6:7], v[5:6], off
.LBB52_2:
	s_or_b32 exec_lo, exec_lo, s4
	v_dual_mov_b32 v5, 0 :: v_dual_lshlrev_b32 v8, 3, v0
	s_waitcnt vmcnt(0)
	ds_store_b64 v8, v[6:7]
	s_and_saveexec_b32 s4, s2
	s_cbranch_execz .LBB52_4
; %bb.3:
	s_load_b64 s[6:7], s[0:1], 0x18
	v_lshlrev_b64 v[3:4], 3, v[1:2]
	s_waitcnt lgkmcnt(0)
	s_delay_alu instid0(VALU_DEP_1) | instskip(NEXT) | instid1(VALU_DEP_2)
	v_add_co_u32 v3, vcc_lo, s6, v3
	v_add_co_ci_u32_e32 v4, vcc_lo, s7, v4, vcc_lo
	global_load_b64 v[4:5], v[3:4], off
.LBB52_4:
	s_or_b32 exec_lo, exec_lo, s4
	s_load_b64 s[4:5], s[0:1], 0x28
	v_dual_mov_b32 v3, 0 :: v_dual_mov_b32 v6, 0
	v_mov_b32_e32 v7, 0
	s_waitcnt vmcnt(0)
	ds_store_b64 v8, v[4:5] offset:64
	s_and_saveexec_b32 s6, s2
	s_cbranch_execz .LBB52_6
; %bb.5:
	s_load_b64 s[0:1], s[0:1], 0x20
	v_lshlrev_b64 v[4:5], 3, v[1:2]
	s_waitcnt lgkmcnt(0)
	s_delay_alu instid0(VALU_DEP_1) | instskip(NEXT) | instid1(VALU_DEP_2)
	v_add_co_u32 v4, vcc_lo, s0, v4
	v_add_co_ci_u32_e32 v5, vcc_lo, s1, v5, vcc_lo
	global_load_b64 v[6:7], v[4:5], off
.LBB52_6:
	s_or_b32 exec_lo, exec_lo, s6
	v_or_b32_e32 v9, 64, v8
	v_or_b32_e32 v5, 0x80, v8
	v_mov_b32_e32 v4, 0
	s_waitcnt vmcnt(0)
	ds_store_b64 v8, v[6:7] offset:128
	s_and_saveexec_b32 s0, s2
	s_cbranch_execz .LBB52_8
; %bb.7:
	v_lshlrev_b64 v[3:4], 3, v[1:2]
	s_waitcnt lgkmcnt(0)
	s_delay_alu instid0(VALU_DEP_1) | instskip(NEXT) | instid1(VALU_DEP_2)
	v_add_co_u32 v3, vcc_lo, s4, v3
	v_add_co_ci_u32_e32 v4, vcc_lo, s5, v4, vcc_lo
	global_load_b64 v[3:4], v[3:4], off
.LBB52_8:
	s_or_b32 exec_lo, exec_lo, s0
	v_add_nc_u32_e32 v6, 1, v0
	s_add_i32 s6, s3, -1
	v_max_u32_e32 v7, 1, v0
	s_waitcnt vmcnt(0)
	ds_store_b64 v8, v[3:4] offset:256
	s_waitcnt lgkmcnt(0)
	v_cmp_gt_i32_e32 vcc_lo, s3, v6
	; wave barrier
	buffer_gl0_inv
	v_lshlrev_b32_e32 v18, 3, v7
	v_max_u32_e32 v21, 2, v0
	v_cndmask_b32_e32 v6, s6, v6, vcc_lo
	s_delay_alu instid0(VALU_DEP_1)
	v_lshlrev_b32_e32 v19, 3, v6
	ds_load_2addr_b64 v[10:13], v18 offset0:7 offset1:15
	ds_load_2addr_b64 v[14:17], v19 offset1:8
	ds_load_b64 v[3:4], v8
	ds_load_b64 v[6:7], v5
	;; [unrolled: 1-line block ×3, first 2 shown]
	s_waitcnt lgkmcnt(3)
	v_dual_mul_f32 v30, v11, v11 :: v_dual_mul_f32 v31, v17, v17
	s_waitcnt lgkmcnt(2)
	v_mul_f32_e64 v43, v11, -v3
	v_dual_mul_f32 v11, v11, v4 :: v_dual_lshlrev_b32 v40, 3, v21
	s_delay_alu instid0(VALU_DEP_3) | instskip(NEXT) | instid1(VALU_DEP_3)
	v_fmac_f32_e32 v31, v16, v16
	v_fmac_f32_e32 v43, v4, v10
	s_delay_alu instid0(VALU_DEP_3) | instskip(NEXT) | instid1(VALU_DEP_3)
	v_fmac_f32_e32 v11, v3, v10
	v_div_scale_f32 v33, null, v31, v31, 1.0
	v_div_scale_f32 v37, s0, 1.0, v31, 1.0
	s_delay_alu instid0(VALU_DEP_2) | instskip(SKIP_2) | instid1(VALU_DEP_1)
	v_rcp_f32_e32 v35, v33
	s_waitcnt_depctr 0xfff
	v_fma_f32 v25, -v33, v35, 1.0
	v_dual_fmac_f32 v30, v10, v10 :: v_dual_fmac_f32 v35, v25, v35
	s_delay_alu instid0(VALU_DEP_1) | instskip(SKIP_2) | instid1(VALU_DEP_4)
	v_div_scale_f32 v32, null, v30, v30, 1.0
	v_add_nc_u32_e32 v20, 2, v0
	v_div_scale_f32 v36, vcc_lo, 1.0, v30, 1.0
	v_mul_f32_e32 v39, v37, v35
	s_delay_alu instid0(VALU_DEP_4) | instskip(NEXT) | instid1(VALU_DEP_3)
	v_rcp_f32_e32 v34, v32
	v_cmp_gt_i32_e64 s1, s3, v20
	s_delay_alu instid0(VALU_DEP_2) | instskip(NEXT) | instid1(VALU_DEP_2)
	v_fma_f32 v42, -v33, v39, v37
	v_cndmask_b32_e64 v20, s6, v20, s1
	v_cmp_gt_u32_e64 s1, 4, v0
	s_delay_alu instid0(VALU_DEP_3) | instskip(SKIP_4) | instid1(VALU_DEP_3)
	v_fmac_f32_e32 v39, v42, v35
	s_waitcnt_depctr 0xfff
	v_fma_f32 v24, -v32, v34, 1.0
	v_lshlrev_b32_e32 v41, 3, v20
	v_fma_f32 v33, -v33, v39, v37
	v_fmac_f32_e32 v34, v24, v34
	v_add_nc_u32_e32 v24, -8, v18
	s_delay_alu instid0(VALU_DEP_2) | instskip(SKIP_4) | instid1(VALU_DEP_1)
	v_mul_f32_e32 v38, v36, v34
	ds_load_b64 v[24:25], v24
	ds_load_b64 v[26:27], v18 offset:248
	ds_load_b64 v[28:29], v8 offset:256
	v_fma_f32 v20, -v32, v38, v36
	v_fmac_f32_e32 v38, v20, v34
	ds_load_2addr_b64 v[18:21], v19 offset0:16 offset1:32
	s_waitcnt vmcnt(0) lgkmcnt(0)
	s_waitcnt_vscnt null, 0x0
	; wave barrier
	s_waitcnt lgkmcnt(0)
	buffer_gl0_inv
	v_fma_f32 v4, -v32, v38, v36
	v_mul_f32_e32 v32, v17, v7
	v_mul_f32_e64 v17, v17, -v6
	s_delay_alu instid0(VALU_DEP_3) | instskip(SKIP_1) | instid1(VALU_DEP_2)
	v_div_fmas_f32 v4, v4, v34, v38
	s_mov_b32 vcc_lo, s0
	v_fmac_f32_e32 v17, v7, v16
	v_div_fmas_f32 v33, v33, v35, v39
	v_fmac_f32_e32 v32, v6, v16
	v_div_fixup_f32 v4, v4, v30, 1.0
	s_delay_alu instid0(VALU_DEP_3) | instskip(NEXT) | instid1(VALU_DEP_1)
	v_div_fixup_f32 v3, v33, v31, 1.0
	v_mul_f32_e32 v10, v17, v3
	s_delay_alu instid0(VALU_DEP_3) | instskip(SKIP_1) | instid1(VALU_DEP_2)
	v_mul_f32_e32 v6, v43, v4
	v_mul_f32_e32 v4, v4, v11
	v_mul_f32_e64 v11, v6, -v13
	v_mul_f32_e32 v16, v6, v12
	s_delay_alu instid0(VALU_DEP_2) | instskip(NEXT) | instid1(VALU_DEP_2)
	v_fmac_f32_e32 v11, v12, v4
	v_dual_fmac_f32 v16, v13, v4 :: v_dual_mul_f32 v13, v10, v14
	v_mul_f32_e32 v30, v6, v26
	v_mul_f32_e64 v17, v6, -v27
	s_delay_alu instid0(VALU_DEP_4) | instskip(SKIP_1) | instid1(VALU_DEP_4)
	v_sub_f32_e32 v22, v22, v11
	v_mul_f32_e64 v12, v10, -v15
	v_fmac_f32_e32 v30, v27, v4
	s_delay_alu instid0(VALU_DEP_1)
	v_sub_f32_e32 v11, v29, v30
	v_mul_f32_e32 v7, v3, v32
	v_mul_f32_e32 v3, v6, v25
	v_fmac_f32_e32 v17, v26, v4
	v_mul_f32_e64 v26, v10, -v21
	v_mul_f32_e64 v6, v6, -v24
	v_fmac_f32_e32 v12, v14, v7
	v_fma_f32 v3, -v24, v4, v3
	v_mul_f32_e64 v24, v10, -v18
	v_dual_fmac_f32 v26, v20, v7 :: v_dual_mul_f32 v27, v10, v20
	v_fma_f32 v4, -v25, v4, v6
	v_mul_f32_e32 v6, v10, v19
	v_dual_sub_f32 v10, v28, v17 :: v_dual_fmac_f32 v13, v15, v7
	s_delay_alu instid0(VALU_DEP_4) | instskip(NEXT) | instid1(VALU_DEP_3)
	v_dual_fmac_f32 v27, v21, v7 :: v_dual_sub_f32 v12, v22, v12
	v_fma_f32 v6, -v18, v7, v6
	s_delay_alu instid0(VALU_DEP_3) | instskip(SKIP_1) | instid1(VALU_DEP_4)
	v_sub_f32_e32 v10, v10, v26
	v_fma_f32 v7, -v19, v7, v24
	v_sub_f32_e32 v11, v11, v27
	v_sub_f32_e32 v16, v23, v16
	s_delay_alu instid0(VALU_DEP_1)
	v_sub_f32_e32 v13, v16, v13
	ds_store_b64 v8, v[10:11] offset:256
	ds_store_b64 v8, v[3:4]
	ds_store_b64 v9, v[12:13]
	;; [unrolled: 1-line block ×3, first 2 shown]
	s_waitcnt vmcnt(0) lgkmcnt(0)
	s_waitcnt_vscnt null, 0x0
	; wave barrier
	s_waitcnt lgkmcnt(0)
	buffer_gl0_inv
	ds_load_2addr_b64 v[10:13], v40 offset0:6 offset1:14
	ds_load_2addr_b64 v[14:17], v41 offset1:8
	ds_load_b64 v[3:4], v8
	ds_load_b64 v[6:7], v5
	s_waitcnt lgkmcnt(2)
	v_dual_mul_f32 v30, v11, v11 :: v_dual_mul_f32 v31, v17, v17
	s_delay_alu instid0(VALU_DEP_1) | instskip(NEXT) | instid1(VALU_DEP_1)
	v_dual_fmac_f32 v30, v10, v10 :: v_dual_fmac_f32 v31, v16, v16
	v_div_scale_f32 v32, null, v30, v30, 1.0
	s_delay_alu instid0(VALU_DEP_2) | instskip(SKIP_1) | instid1(VALU_DEP_3)
	v_div_scale_f32 v33, null, v31, v31, 1.0
	v_div_scale_f32 v37, s0, 1.0, v31, 1.0
	v_rcp_f32_e32 v34, v32
	s_delay_alu instid0(VALU_DEP_2) | instskip(SKIP_3) | instid1(VALU_DEP_2)
	v_rcp_f32_e32 v35, v33
	s_waitcnt_depctr 0xfff
	v_fma_f32 v18, -v32, v34, 1.0
	v_fma_f32 v19, -v33, v35, 1.0
	v_fmac_f32_e32 v34, v18, v34
	s_delay_alu instid0(VALU_DEP_2)
	v_dual_fmac_f32 v35, v19, v35 :: v_dual_add_nc_u32 v18, -16, v40
	ds_load_b64 v[22:23], v9
	ds_load_b64 v[24:25], v18
	ds_load_b64 v[26:27], v40 offset:240
	ds_load_b64 v[28:29], v8 offset:256
	ds_load_2addr_b64 v[18:21], v41 offset0:16 offset1:32
	s_waitcnt lgkmcnt(5)
	v_mul_f32_e32 v41, v17, v7
	v_div_scale_f32 v36, vcc_lo, 1.0, v30, 1.0
	v_mul_f32_e64 v17, v17, -v6
	v_dual_mul_f32 v39, v37, v35 :: v_dual_mul_f32 v40, v11, v4
	v_mul_f32_e64 v11, v11, -v3
	v_fmac_f32_e32 v41, v6, v16
	s_delay_alu instid0(VALU_DEP_4) | instskip(NEXT) | instid1(VALU_DEP_4)
	v_dual_fmac_f32 v17, v7, v16 :: v_dual_mul_f32 v38, v36, v34
	v_fma_f32 v43, -v33, v39, v37
	s_delay_alu instid0(VALU_DEP_4)
	v_fmac_f32_e32 v11, v4, v10
	s_waitcnt vmcnt(0) lgkmcnt(0)
	s_waitcnt_vscnt null, 0x0
	; wave barrier
	s_waitcnt lgkmcnt(0)
	buffer_gl0_inv
	v_fma_f32 v42, -v32, v38, v36
	s_delay_alu instid0(VALU_DEP_1) | instskip(NEXT) | instid1(VALU_DEP_1)
	v_dual_fmac_f32 v39, v43, v35 :: v_dual_fmac_f32 v38, v42, v34
	v_fma_f32 v33, -v33, v39, v37
	s_delay_alu instid0(VALU_DEP_2) | instskip(NEXT) | instid1(VALU_DEP_1)
	v_fma_f32 v32, -v32, v38, v36
	v_div_fmas_f32 v32, v32, v34, v38
	s_mov_b32 vcc_lo, s0
	s_delay_alu instid0(VALU_DEP_3) | instskip(NEXT) | instid1(VALU_DEP_2)
	v_div_fmas_f32 v33, v33, v35, v39
	v_div_fixup_f32 v4, v32, v30, 1.0
	s_delay_alu instid0(VALU_DEP_1) | instskip(SKIP_1) | instid1(VALU_DEP_4)
	v_mul_f32_e32 v6, v11, v4
	v_fmac_f32_e32 v40, v3, v10
	v_div_fixup_f32 v3, v33, v31, 1.0
	s_delay_alu instid0(VALU_DEP_1) | instskip(SKIP_1) | instid1(VALU_DEP_1)
	v_mul_f32_e32 v7, v3, v41
	v_mul_f32_e32 v3, v17, v3
	v_mul_f32_e64 v31, v3, -v15
	v_mul_f32_e32 v34, v3, v20
	v_mul_f32_e64 v33, v3, -v21
	v_mul_f32_e32 v32, v3, v14
	v_mul_f32_e32 v35, v3, v19
	v_fmac_f32_e32 v31, v14, v7
	v_mul_f32_e32 v11, v6, v12
	v_fmac_f32_e32 v33, v20, v7
	v_dual_mul_f32 v4, v4, v40 :: v_dual_mul_f32 v17, v6, v26
	v_mul_f32_e64 v16, v6, -v27
	v_mul_f32_e64 v10, v6, -v13
	s_delay_alu instid0(VALU_DEP_3) | instskip(NEXT) | instid1(VALU_DEP_4)
	v_dual_mul_f32 v30, v6, v25 :: v_dual_fmac_f32 v11, v13, v4
	v_dual_fmac_f32 v17, v27, v4 :: v_dual_fmac_f32 v34, v21, v7
	v_fmac_f32_e32 v32, v15, v7
	v_mul_f32_e64 v6, v6, -v24
	s_delay_alu instid0(VALU_DEP_4) | instskip(NEXT) | instid1(VALU_DEP_4)
	v_sub_f32_e32 v15, v23, v11
	v_dual_sub_f32 v13, v29, v17 :: v_dual_fmac_f32 v16, v26, v4
	v_fmac_f32_e32 v10, v12, v4
	v_mul_f32_e64 v36, v3, -v18
	v_fma_f32 v3, -v24, v4, v30
	s_delay_alu instid0(VALU_DEP_4) | instskip(NEXT) | instid1(VALU_DEP_4)
	v_dual_sub_f32 v11, v13, v34 :: v_dual_sub_f32 v12, v28, v16
	v_dual_sub_f32 v14, v22, v10 :: v_dual_sub_f32 v13, v15, v32
	v_fma_f32 v4, -v25, v4, v6
	v_fma_f32 v6, -v18, v7, v35
	s_delay_alu instid0(VALU_DEP_4) | instskip(NEXT) | instid1(VALU_DEP_4)
	v_sub_f32_e32 v10, v12, v33
	v_sub_f32_e32 v12, v14, v31
	v_fma_f32 v7, -v19, v7, v36
	ds_store_b64 v8, v[10:11] offset:256
	ds_store_b64 v8, v[3:4]
	ds_store_b64 v9, v[12:13]
	;; [unrolled: 1-line block ×3, first 2 shown]
	s_waitcnt vmcnt(0) lgkmcnt(0)
	s_waitcnt_vscnt null, 0x0
	; wave barrier
	s_waitcnt lgkmcnt(0)
	buffer_gl0_inv
	s_and_saveexec_b32 s0, s1
	s_cbranch_execz .LBB52_14
; %bb.9:
	v_or_b32_e32 v6, 4, v0
	v_or_b32_e32 v7, 0x100, v8
	s_mov_b32 s1, exec_lo
                                        ; implicit-def: $vgpr4
	s_delay_alu instid0(VALU_DEP_2)
	v_cmpx_le_i32_e64 s3, v6
	s_xor_b32 s1, exec_lo, s1
	s_cbranch_execz .LBB52_11
; %bb.10:
	ds_load_b64 v[3:4], v9
	s_waitcnt lgkmcnt(0)
	v_mul_f32_e32 v9, v4, v4
	s_delay_alu instid0(VALU_DEP_1) | instskip(NEXT) | instid1(VALU_DEP_1)
	v_fmac_f32_e32 v9, v3, v3
	v_div_scale_f32 v10, null, v9, v9, 1.0
	v_div_scale_f32 v12, vcc_lo, 1.0, v9, 1.0
	s_delay_alu instid0(VALU_DEP_2) | instskip(SKIP_2) | instid1(VALU_DEP_1)
	v_rcp_f32_e32 v11, v10
	s_waitcnt_depctr 0xfff
	v_fma_f32 v5, -v10, v11, 1.0
	v_fmac_f32_e32 v11, v5, v11
	ds_load_b64 v[5:6], v7
	v_mul_f32_e32 v7, v12, v11
	s_delay_alu instid0(VALU_DEP_1) | instskip(NEXT) | instid1(VALU_DEP_1)
	v_fma_f32 v13, -v10, v7, v12
	v_fmac_f32_e32 v7, v13, v11
	s_delay_alu instid0(VALU_DEP_1) | instskip(SKIP_3) | instid1(VALU_DEP_3)
	v_fma_f32 v10, -v10, v7, v12
	s_waitcnt lgkmcnt(0)
	v_mul_f32_e32 v12, v4, v6
	v_mul_f32_e64 v4, v4, -v5
	v_div_fmas_f32 v7, v10, v11, v7
	s_delay_alu instid0(VALU_DEP_3) | instskip(NEXT) | instid1(VALU_DEP_2)
	v_fmac_f32_e32 v12, v5, v3
	v_div_fixup_f32 v5, v7, v9, 1.0
	s_delay_alu instid0(VALU_DEP_4) | instskip(NEXT) | instid1(VALU_DEP_1)
	v_fmac_f32_e32 v4, v6, v3
                                        ; implicit-def: $vgpr9
                                        ; implicit-def: $vgpr7
                                        ; implicit-def: $vgpr6
	v_dual_mul_f32 v3, v5, v12 :: v_dual_mul_f32 v4, v4, v5
                                        ; implicit-def: $vgpr5
.LBB52_11:
	s_and_not1_saveexec_b32 s1, s1
	s_cbranch_execz .LBB52_13
; %bb.12:
	ds_load_2addr_b64 v[9:12], v9 offset1:4
	ds_load_b64 v[3:4], v5
	ds_load_b64 v[17:18], v8 offset:32
	s_waitcnt lgkmcnt(2)
	v_mul_f32_e64 v13, v10, -v12
	s_waitcnt lgkmcnt(0)
	v_mul_f32_e32 v5, v18, v3
	v_mul_f32_e32 v0, v10, v11
	v_mul_f32_e64 v14, v18, -v4
	v_fmac_f32_e32 v13, v11, v9
	s_delay_alu instid0(VALU_DEP_4) | instskip(NEXT) | instid1(VALU_DEP_4)
	v_fmac_f32_e32 v5, v4, v17
	v_fmac_f32_e32 v0, v12, v9
	s_delay_alu instid0(VALU_DEP_1) | instskip(NEXT) | instid1(VALU_DEP_1)
	v_sub_f32_e32 v0, v0, v5
	v_dual_fmac_f32 v14, v3, v17 :: v_dual_mul_f32 v19, v0, v0
	s_delay_alu instid0(VALU_DEP_1)
	v_sub_f32_e32 v5, v13, v14
	ds_load_2addr_b64 v[13:16], v7 offset1:4
	s_waitcnt lgkmcnt(0)
	v_mul_f32_e64 v26, v16, -v4
	v_fmac_f32_e32 v19, v5, v5
	v_mul_f32_e32 v27, v16, v3
	v_mul_f32_e64 v28, v10, -v16
	v_mul_f32_e64 v23, v14, -v12
	v_fmac_f32_e32 v26, v3, v15
	v_div_scale_f32 v20, null, v19, v19, 1.0
	v_div_scale_f32 v22, vcc_lo, 1.0, v19, 1.0
	v_fmac_f32_e32 v27, v4, v15
	s_delay_alu instid0(VALU_DEP_3)
	v_rcp_f32_e32 v21, v20
	v_fma_f32 v4, v5, 0, -v0
	v_dual_mul_f32 v25, v14, v11 :: v_dual_fmac_f32 v28, v15, v9
	v_fma_f32 v0, 0, v0, v5
	v_dual_fmac_f32 v23, v11, v13 :: v_dual_mul_f32 v10, v10, v15
	s_waitcnt_depctr 0xfff
	v_fma_f32 v7, -v20, v21, 1.0
	v_sub_f32_e32 v5, v23, v26
	s_delay_alu instid0(VALU_DEP_2) | instskip(NEXT) | instid1(VALU_DEP_1)
	v_fmac_f32_e32 v21, v7, v21
	v_mul_f32_e32 v7, v22, v21
	s_delay_alu instid0(VALU_DEP_1) | instskip(NEXT) | instid1(VALU_DEP_1)
	v_fma_f32 v24, -v20, v7, v22
	v_fmac_f32_e32 v7, v24, v21
	v_mul_f32_e64 v24, v18, -v14
	v_mul_f32_e32 v18, v18, v13
	s_delay_alu instid0(VALU_DEP_3) | instskip(NEXT) | instid1(VALU_DEP_3)
	v_fma_f32 v11, -v20, v7, v22
	v_fmac_f32_e32 v24, v13, v17
	v_fmac_f32_e32 v10, v16, v9
	s_delay_alu instid0(VALU_DEP_3) | instskip(NEXT) | instid1(VALU_DEP_1)
	v_div_fmas_f32 v3, v11, v21, v7
	v_div_fixup_f32 v3, v3, v19, 1.0
	s_delay_alu instid0(VALU_DEP_1) | instskip(SKIP_2) | instid1(VALU_DEP_1)
	v_mul_f32_e32 v4, v4, v3
	v_mul_f32_e32 v0, v0, v3
	v_fmac_f32_e32 v18, v14, v17
	v_dual_sub_f32 v11, v10, v18 :: v_dual_mul_f32 v10, v5, v4
	v_fmac_f32_e32 v25, v12, v13
	v_sub_f32_e32 v12, v28, v24
	s_delay_alu instid0(VALU_DEP_3) | instskip(NEXT) | instid1(VALU_DEP_3)
	v_mul_f32_e64 v3, v4, -v11
	v_sub_f32_e32 v7, v25, v27
	s_delay_alu instid0(VALU_DEP_2) | instskip(NEXT) | instid1(VALU_DEP_2)
	v_fmac_f32_e32 v3, v12, v0
	v_mul_f32_e64 v9, v4, -v7
	v_mul_f32_e32 v4, v4, v12
	v_fmac_f32_e32 v10, v7, v0
	s_delay_alu instid0(VALU_DEP_3) | instskip(NEXT) | instid1(VALU_DEP_3)
	v_fmac_f32_e32 v9, v5, v0
	v_fmac_f32_e32 v4, v11, v0
	v_mov_b32_e32 v0, v6
	ds_store_b64 v8, v[9:10] offset:192
.LBB52_13:
	s_or_b32 exec_lo, exec_lo, s1
	v_lshlrev_b32_e32 v0, 3, v0
	ds_store_b64 v0, v[3:4] offset:192
.LBB52_14:
	s_or_b32 exec_lo, exec_lo, s0
	s_waitcnt vmcnt(0) lgkmcnt(0)
	s_waitcnt_vscnt null, 0x0
	; wave barrier
	s_waitcnt lgkmcnt(0)
	buffer_gl0_inv
	s_and_saveexec_b32 s0, s2
	s_cbranch_execz .LBB52_16
; %bb.15:
	ds_load_b64 v[3:4], v8 offset:192
	v_lshlrev_b64 v[0:1], 3, v[1:2]
	s_delay_alu instid0(VALU_DEP_1) | instskip(NEXT) | instid1(VALU_DEP_2)
	v_add_co_u32 v0, vcc_lo, s4, v0
	v_add_co_ci_u32_e32 v1, vcc_lo, s5, v1, vcc_lo
	s_waitcnt lgkmcnt(0)
	global_store_b64 v[0:1], v[3:4], off
.LBB52_16:
	s_nop 0
	s_sendmsg sendmsg(MSG_DEALLOC_VGPRS)
	s_endpgm
	.section	.rodata,"a",@progbits
	.p2align	6, 0x0
	.amdhsa_kernel _ZN9rocsparseL44gtsv_nopivot_strided_batch_pcr_shared_kernelILj8E21rocsparse_complex_numIfEEEviiiPKT0_S5_S5_PS3_
		.amdhsa_group_segment_fixed_size 320
		.amdhsa_private_segment_fixed_size 0
		.amdhsa_kernarg_size 48
		.amdhsa_user_sgpr_count 15
		.amdhsa_user_sgpr_dispatch_ptr 0
		.amdhsa_user_sgpr_queue_ptr 0
		.amdhsa_user_sgpr_kernarg_segment_ptr 1
		.amdhsa_user_sgpr_dispatch_id 0
		.amdhsa_user_sgpr_private_segment_size 0
		.amdhsa_wavefront_size32 1
		.amdhsa_uses_dynamic_stack 0
		.amdhsa_enable_private_segment 0
		.amdhsa_system_sgpr_workgroup_id_x 1
		.amdhsa_system_sgpr_workgroup_id_y 0
		.amdhsa_system_sgpr_workgroup_id_z 0
		.amdhsa_system_sgpr_workgroup_info 0
		.amdhsa_system_vgpr_workitem_id 0
		.amdhsa_next_free_vgpr 44
		.amdhsa_next_free_sgpr 16
		.amdhsa_reserve_vcc 1
		.amdhsa_float_round_mode_32 0
		.amdhsa_float_round_mode_16_64 0
		.amdhsa_float_denorm_mode_32 3
		.amdhsa_float_denorm_mode_16_64 3
		.amdhsa_dx10_clamp 1
		.amdhsa_ieee_mode 1
		.amdhsa_fp16_overflow 0
		.amdhsa_workgroup_processor_mode 1
		.amdhsa_memory_ordered 1
		.amdhsa_forward_progress 0
		.amdhsa_shared_vgpr_count 0
		.amdhsa_exception_fp_ieee_invalid_op 0
		.amdhsa_exception_fp_denorm_src 0
		.amdhsa_exception_fp_ieee_div_zero 0
		.amdhsa_exception_fp_ieee_overflow 0
		.amdhsa_exception_fp_ieee_underflow 0
		.amdhsa_exception_fp_ieee_inexact 0
		.amdhsa_exception_int_div_zero 0
	.end_amdhsa_kernel
	.section	.text._ZN9rocsparseL44gtsv_nopivot_strided_batch_pcr_shared_kernelILj8E21rocsparse_complex_numIfEEEviiiPKT0_S5_S5_PS3_,"axG",@progbits,_ZN9rocsparseL44gtsv_nopivot_strided_batch_pcr_shared_kernelILj8E21rocsparse_complex_numIfEEEviiiPKT0_S5_S5_PS3_,comdat
.Lfunc_end52:
	.size	_ZN9rocsparseL44gtsv_nopivot_strided_batch_pcr_shared_kernelILj8E21rocsparse_complex_numIfEEEviiiPKT0_S5_S5_PS3_, .Lfunc_end52-_ZN9rocsparseL44gtsv_nopivot_strided_batch_pcr_shared_kernelILj8E21rocsparse_complex_numIfEEEviiiPKT0_S5_S5_PS3_
                                        ; -- End function
	.section	.AMDGPU.csdata,"",@progbits
; Kernel info:
; codeLenInByte = 2396
; NumSgprs: 18
; NumVgprs: 44
; ScratchSize: 0
; MemoryBound: 0
; FloatMode: 240
; IeeeMode: 1
; LDSByteSize: 320 bytes/workgroup (compile time only)
; SGPRBlocks: 2
; VGPRBlocks: 5
; NumSGPRsForWavesPerEU: 18
; NumVGPRsForWavesPerEU: 44
; Occupancy: 16
; WaveLimiterHint : 0
; COMPUTE_PGM_RSRC2:SCRATCH_EN: 0
; COMPUTE_PGM_RSRC2:USER_SGPR: 15
; COMPUTE_PGM_RSRC2:TRAP_HANDLER: 0
; COMPUTE_PGM_RSRC2:TGID_X_EN: 1
; COMPUTE_PGM_RSRC2:TGID_Y_EN: 0
; COMPUTE_PGM_RSRC2:TGID_Z_EN: 0
; COMPUTE_PGM_RSRC2:TIDIG_COMP_CNT: 0
	.section	.text._ZN9rocsparseL44gtsv_nopivot_strided_batch_pcr_shared_kernelILj16E21rocsparse_complex_numIfEEEviiiPKT0_S5_S5_PS3_,"axG",@progbits,_ZN9rocsparseL44gtsv_nopivot_strided_batch_pcr_shared_kernelILj16E21rocsparse_complex_numIfEEEviiiPKT0_S5_S5_PS3_,comdat
	.globl	_ZN9rocsparseL44gtsv_nopivot_strided_batch_pcr_shared_kernelILj16E21rocsparse_complex_numIfEEEviiiPKT0_S5_S5_PS3_ ; -- Begin function _ZN9rocsparseL44gtsv_nopivot_strided_batch_pcr_shared_kernelILj16E21rocsparse_complex_numIfEEEviiiPKT0_S5_S5_PS3_
	.p2align	8
	.type	_ZN9rocsparseL44gtsv_nopivot_strided_batch_pcr_shared_kernelILj16E21rocsparse_complex_numIfEEEviiiPKT0_S5_S5_PS3_,@function
_ZN9rocsparseL44gtsv_nopivot_strided_batch_pcr_shared_kernelILj16E21rocsparse_complex_numIfEEEviiiPKT0_S5_S5_PS3_: ; @_ZN9rocsparseL44gtsv_nopivot_strided_batch_pcr_shared_kernelILj16E21rocsparse_complex_numIfEEEviiiPKT0_S5_S5_PS3_
; %bb.0:
	s_clause 0x1
	s_load_b32 s2, s[0:1], 0x8
	s_load_b32 s3, s[0:1], 0x0
	v_dual_mov_b32 v4, 0 :: v_dual_mov_b32 v7, 0
	v_mov_b32_e32 v6, 0
	s_waitcnt lgkmcnt(0)
	v_mad_u64_u32 v[1:2], null, s15, s2, v[0:1]
	v_cmp_gt_i32_e64 s2, s3, v0
	s_delay_alu instid0(VALU_DEP_2) | instskip(NEXT) | instid1(VALU_DEP_2)
	v_ashrrev_i32_e32 v2, 31, v1
	s_and_saveexec_b32 s4, s2
	s_cbranch_execz .LBB53_2
; %bb.1:
	s_load_b64 s[6:7], s[0:1], 0x10
	s_delay_alu instid0(VALU_DEP_1) | instskip(SKIP_1) | instid1(VALU_DEP_1)
	v_lshlrev_b64 v[5:6], 3, v[1:2]
	s_waitcnt lgkmcnt(0)
	v_add_co_u32 v5, vcc_lo, s6, v5
	s_delay_alu instid0(VALU_DEP_2)
	v_add_co_ci_u32_e32 v6, vcc_lo, s7, v6, vcc_lo
	global_load_b64 v[6:7], v[5:6], off
.LBB53_2:
	s_or_b32 exec_lo, exec_lo, s4
	v_dual_mov_b32 v5, 0 :: v_dual_lshlrev_b32 v8, 3, v0
	s_waitcnt vmcnt(0)
	ds_store_b64 v8, v[6:7]
	s_and_saveexec_b32 s4, s2
	s_cbranch_execz .LBB53_4
; %bb.3:
	s_load_b64 s[6:7], s[0:1], 0x18
	v_lshlrev_b64 v[3:4], 3, v[1:2]
	s_waitcnt lgkmcnt(0)
	s_delay_alu instid0(VALU_DEP_1) | instskip(NEXT) | instid1(VALU_DEP_2)
	v_add_co_u32 v3, vcc_lo, s6, v3
	v_add_co_ci_u32_e32 v4, vcc_lo, s7, v4, vcc_lo
	global_load_b64 v[4:5], v[3:4], off
.LBB53_4:
	s_or_b32 exec_lo, exec_lo, s4
	s_load_b64 s[4:5], s[0:1], 0x28
	v_dual_mov_b32 v3, 0 :: v_dual_mov_b32 v6, 0
	v_mov_b32_e32 v7, 0
	s_waitcnt vmcnt(0)
	ds_store_b64 v8, v[4:5] offset:128
	s_and_saveexec_b32 s6, s2
	s_cbranch_execz .LBB53_6
; %bb.5:
	s_load_b64 s[0:1], s[0:1], 0x20
	v_lshlrev_b64 v[4:5], 3, v[1:2]
	s_waitcnt lgkmcnt(0)
	s_delay_alu instid0(VALU_DEP_1) | instskip(NEXT) | instid1(VALU_DEP_2)
	v_add_co_u32 v4, vcc_lo, s0, v4
	v_add_co_ci_u32_e32 v5, vcc_lo, s1, v5, vcc_lo
	global_load_b64 v[6:7], v[4:5], off
.LBB53_6:
	s_or_b32 exec_lo, exec_lo, s6
	v_or_b32_e32 v9, 0x80, v8
	v_or_b32_e32 v5, 0x100, v8
	v_mov_b32_e32 v4, 0
	s_waitcnt vmcnt(0)
	ds_store_b64 v8, v[6:7] offset:256
	s_and_saveexec_b32 s0, s2
	s_cbranch_execz .LBB53_8
; %bb.7:
	v_lshlrev_b64 v[3:4], 3, v[1:2]
	s_waitcnt lgkmcnt(0)
	s_delay_alu instid0(VALU_DEP_1) | instskip(NEXT) | instid1(VALU_DEP_2)
	v_add_co_u32 v3, vcc_lo, s4, v3
	v_add_co_ci_u32_e32 v4, vcc_lo, s5, v4, vcc_lo
	global_load_b64 v[3:4], v[3:4], off
.LBB53_8:
	s_or_b32 exec_lo, exec_lo, s0
	v_add_nc_u32_e32 v6, 1, v0
	s_add_i32 s6, s3, -1
	v_max_u32_e32 v7, 1, v0
	s_waitcnt vmcnt(0)
	ds_store_b64 v8, v[3:4] offset:512
	s_waitcnt lgkmcnt(0)
	v_cmp_gt_i32_e32 vcc_lo, s3, v6
	; wave barrier
	buffer_gl0_inv
	v_lshlrev_b32_e32 v18, 3, v7
	v_max_u32_e32 v21, 2, v0
	v_cndmask_b32_e32 v6, s6, v6, vcc_lo
	s_delay_alu instid0(VALU_DEP_1)
	v_lshlrev_b32_e32 v19, 3, v6
	ds_load_2addr_b64 v[10:13], v18 offset0:15 offset1:31
	ds_load_2addr_b64 v[14:17], v19 offset1:16
	ds_load_b64 v[3:4], v8
	ds_load_b64 v[6:7], v5
	ds_load_b64 v[22:23], v9
	s_waitcnt lgkmcnt(3)
	v_dual_mul_f32 v30, v11, v11 :: v_dual_mul_f32 v31, v17, v17
	s_waitcnt lgkmcnt(2)
	v_mul_f32_e64 v43, v11, -v3
	v_dual_mul_f32 v11, v11, v4 :: v_dual_lshlrev_b32 v40, 3, v21
	s_delay_alu instid0(VALU_DEP_3) | instskip(NEXT) | instid1(VALU_DEP_3)
	v_fmac_f32_e32 v31, v16, v16
	v_fmac_f32_e32 v43, v4, v10
	s_delay_alu instid0(VALU_DEP_3) | instskip(NEXT) | instid1(VALU_DEP_3)
	v_fmac_f32_e32 v11, v3, v10
	v_div_scale_f32 v33, null, v31, v31, 1.0
	v_div_scale_f32 v37, s0, 1.0, v31, 1.0
	s_delay_alu instid0(VALU_DEP_2) | instskip(SKIP_2) | instid1(VALU_DEP_1)
	v_rcp_f32_e32 v35, v33
	s_waitcnt_depctr 0xfff
	v_fma_f32 v25, -v33, v35, 1.0
	v_dual_fmac_f32 v30, v10, v10 :: v_dual_fmac_f32 v35, v25, v35
	s_delay_alu instid0(VALU_DEP_1) | instskip(SKIP_2) | instid1(VALU_DEP_4)
	v_div_scale_f32 v32, null, v30, v30, 1.0
	v_add_nc_u32_e32 v20, 2, v0
	v_div_scale_f32 v36, vcc_lo, 1.0, v30, 1.0
	v_mul_f32_e32 v39, v37, v35
	s_delay_alu instid0(VALU_DEP_4) | instskip(NEXT) | instid1(VALU_DEP_3)
	v_rcp_f32_e32 v34, v32
	v_cmp_gt_i32_e64 s1, s3, v20
	s_delay_alu instid0(VALU_DEP_2) | instskip(NEXT) | instid1(VALU_DEP_2)
	v_fma_f32 v42, -v33, v39, v37
	v_cndmask_b32_e64 v20, s6, v20, s1
	s_delay_alu instid0(VALU_DEP_2) | instskip(SKIP_4) | instid1(VALU_DEP_3)
	v_fmac_f32_e32 v39, v42, v35
	s_waitcnt_depctr 0xfff
	v_fma_f32 v24, -v32, v34, 1.0
	v_lshlrev_b32_e32 v41, 3, v20
	v_fma_f32 v33, -v33, v39, v37
	v_fmac_f32_e32 v34, v24, v34
	v_add_nc_u32_e32 v24, -8, v18
	s_delay_alu instid0(VALU_DEP_2) | instskip(SKIP_4) | instid1(VALU_DEP_1)
	v_mul_f32_e32 v38, v36, v34
	ds_load_b64 v[24:25], v24
	ds_load_b64 v[26:27], v18 offset:504
	ds_load_b64 v[28:29], v8 offset:512
	v_fma_f32 v20, -v32, v38, v36
	v_fmac_f32_e32 v38, v20, v34
	ds_load_2addr_b64 v[18:21], v19 offset0:32 offset1:64
	s_waitcnt vmcnt(0) lgkmcnt(0)
	s_waitcnt_vscnt null, 0x0
	; wave barrier
	s_waitcnt lgkmcnt(0)
	buffer_gl0_inv
	v_fma_f32 v4, -v32, v38, v36
	v_mul_f32_e32 v32, v17, v7
	v_mul_f32_e64 v17, v17, -v6
	s_delay_alu instid0(VALU_DEP_3) | instskip(SKIP_1) | instid1(VALU_DEP_2)
	v_div_fmas_f32 v4, v4, v34, v38
	s_mov_b32 vcc_lo, s0
	v_fmac_f32_e32 v17, v7, v16
	v_div_fmas_f32 v33, v33, v35, v39
	v_fmac_f32_e32 v32, v6, v16
	v_div_fixup_f32 v4, v4, v30, 1.0
	s_delay_alu instid0(VALU_DEP_3) | instskip(NEXT) | instid1(VALU_DEP_1)
	v_div_fixup_f32 v3, v33, v31, 1.0
	v_mul_f32_e32 v10, v17, v3
	s_delay_alu instid0(VALU_DEP_3) | instskip(SKIP_1) | instid1(VALU_DEP_2)
	v_mul_f32_e32 v6, v43, v4
	v_mul_f32_e32 v4, v4, v11
	v_mul_f32_e64 v11, v6, -v13
	v_mul_f32_e32 v16, v6, v12
	s_delay_alu instid0(VALU_DEP_2) | instskip(NEXT) | instid1(VALU_DEP_2)
	v_fmac_f32_e32 v11, v12, v4
	v_dual_fmac_f32 v16, v13, v4 :: v_dual_mul_f32 v13, v10, v14
	v_mul_f32_e32 v30, v6, v26
	v_mul_f32_e64 v17, v6, -v27
	s_delay_alu instid0(VALU_DEP_4) | instskip(SKIP_1) | instid1(VALU_DEP_4)
	v_sub_f32_e32 v22, v22, v11
	v_mul_f32_e64 v12, v10, -v15
	v_fmac_f32_e32 v30, v27, v4
	s_delay_alu instid0(VALU_DEP_1)
	v_sub_f32_e32 v11, v29, v30
	v_mul_f32_e32 v7, v3, v32
	v_mul_f32_e32 v3, v6, v25
	v_fmac_f32_e32 v17, v26, v4
	v_mul_f32_e64 v26, v10, -v21
	v_mul_f32_e64 v6, v6, -v24
	v_fmac_f32_e32 v12, v14, v7
	v_fma_f32 v3, -v24, v4, v3
	v_mul_f32_e64 v24, v10, -v18
	v_dual_fmac_f32 v26, v20, v7 :: v_dual_mul_f32 v27, v10, v20
	v_fma_f32 v4, -v25, v4, v6
	v_mul_f32_e32 v6, v10, v19
	v_dual_sub_f32 v10, v28, v17 :: v_dual_fmac_f32 v13, v15, v7
	s_delay_alu instid0(VALU_DEP_4) | instskip(NEXT) | instid1(VALU_DEP_3)
	v_fmac_f32_e32 v27, v21, v7
	v_fma_f32 v6, -v18, v7, v6
	v_fma_f32 v7, -v19, v7, v24
	v_max_u32_e32 v19, 4, v0
	s_delay_alu instid0(VALU_DEP_4)
	v_sub_f32_e32 v11, v11, v27
	v_sub_f32_e32 v16, v23, v16
	;; [unrolled: 1-line block ×3, first 2 shown]
	v_add_nc_u32_e32 v18, 4, v0
	v_lshlrev_b32_e32 v38, 3, v19
	v_add_nc_u32_e32 v19, -16, v40
	v_dual_sub_f32 v12, v22, v12 :: v_dual_sub_f32 v13, v16, v13
	ds_store_b64 v8, v[10:11] offset:512
	ds_store_b64 v8, v[3:4]
	ds_store_b64 v9, v[12:13]
	;; [unrolled: 1-line block ×3, first 2 shown]
	s_waitcnt vmcnt(0) lgkmcnt(0)
	s_waitcnt_vscnt null, 0x0
	; wave barrier
	s_waitcnt lgkmcnt(0)
	buffer_gl0_inv
	ds_load_2addr_b64 v[10:13], v40 offset0:14 offset1:30
	ds_load_2addr_b64 v[14:17], v41 offset1:16
	v_cmp_gt_i32_e64 s1, s3, v18
	ds_load_b64 v[3:4], v8
	ds_load_b64 v[6:7], v5
	;; [unrolled: 1-line block ×4, first 2 shown]
	v_cndmask_b32_e64 v18, s6, v18, s1
	v_cmp_gt_u32_e64 s1, 8, v0
	s_waitcnt lgkmcnt(5)
	s_delay_alu instid0(VALU_DEP_2) | instskip(SKIP_1) | instid1(VALU_DEP_1)
	v_dual_mul_f32 v30, v11, v11 :: v_dual_lshlrev_b32 v43, 3, v18
	s_waitcnt lgkmcnt(4)
	v_dual_mul_f32 v31, v17, v17 :: v_dual_fmac_f32 v30, v10, v10
	s_delay_alu instid0(VALU_DEP_1) | instskip(NEXT) | instid1(VALU_DEP_2)
	v_fmac_f32_e32 v31, v16, v16
	v_div_scale_f32 v32, null, v30, v30, 1.0
	s_delay_alu instid0(VALU_DEP_2) | instskip(SKIP_1) | instid1(VALU_DEP_3)
	v_div_scale_f32 v33, null, v31, v31, 1.0
	v_div_scale_f32 v37, s0, 1.0, v31, 1.0
	v_rcp_f32_e32 v34, v32
	s_delay_alu instid0(VALU_DEP_2) | instskip(SKIP_3) | instid1(VALU_DEP_1)
	v_rcp_f32_e32 v35, v33
	s_waitcnt_depctr 0xfff
	v_fma_f32 v20, -v32, v34, 1.0
	v_fma_f32 v21, -v33, v35, 1.0
	v_dual_fmac_f32 v34, v20, v34 :: v_dual_fmac_f32 v35, v21, v35
	ds_load_b64 v[26:27], v40 offset:496
	ds_load_b64 v[28:29], v8 offset:512
	ds_load_2addr_b64 v[18:21], v41 offset0:32 offset1:64
	s_waitcnt lgkmcnt(5)
	v_mul_f32_e32 v41, v17, v7
	v_mul_f32_e64 v17, v17, -v6
	s_waitcnt vmcnt(0) lgkmcnt(0)
	s_waitcnt_vscnt null, 0x0
	; wave barrier
	s_waitcnt lgkmcnt(0)
	buffer_gl0_inv
	v_fmac_f32_e32 v41, v6, v16
	v_fmac_f32_e32 v17, v7, v16
	v_div_scale_f32 v36, vcc_lo, 1.0, v30, 1.0
	v_mul_f32_e32 v42, v37, v35
	v_mul_f32_e32 v40, v11, v4
	v_mul_f32_e64 v11, v11, -v3
	s_delay_alu instid0(VALU_DEP_4) | instskip(NEXT) | instid1(VALU_DEP_4)
	v_mul_f32_e32 v39, v36, v34
	v_fma_f32 v45, -v33, v42, v37
	s_delay_alu instid0(VALU_DEP_3) | instskip(NEXT) | instid1(VALU_DEP_3)
	v_fmac_f32_e32 v11, v4, v10
	v_fma_f32 v44, -v32, v39, v36
	s_delay_alu instid0(VALU_DEP_1) | instskip(NEXT) | instid1(VALU_DEP_1)
	v_fmac_f32_e32 v39, v44, v34
	v_fma_f32 v32, -v32, v39, v36
	s_delay_alu instid0(VALU_DEP_1) | instskip(SKIP_1) | instid1(VALU_DEP_1)
	v_div_fmas_f32 v32, v32, v34, v39
	s_mov_b32 vcc_lo, s0
	v_div_fixup_f32 v4, v32, v30, 1.0
	s_delay_alu instid0(VALU_DEP_1) | instskip(NEXT) | instid1(VALU_DEP_1)
	v_mul_f32_e32 v6, v11, v4
	v_dual_fmac_f32 v42, v45, v35 :: v_dual_mul_f32 v11, v6, v12
	s_delay_alu instid0(VALU_DEP_1) | instskip(SKIP_1) | instid1(VALU_DEP_2)
	v_fma_f32 v33, -v33, v42, v37
	v_fmac_f32_e32 v40, v3, v10
	v_div_fmas_f32 v33, v33, v35, v42
	s_delay_alu instid0(VALU_DEP_1) | instskip(NEXT) | instid1(VALU_DEP_1)
	v_div_fixup_f32 v3, v33, v31, 1.0
	v_mul_f32_e32 v7, v3, v41
	v_mul_f32_e32 v3, v17, v3
	s_delay_alu instid0(VALU_DEP_1)
	v_mul_f32_e64 v31, v3, -v15
	v_mul_f32_e64 v33, v3, -v21
	v_mul_f32_e32 v32, v3, v14
	v_mul_f32_e32 v35, v3, v19
	v_mul_f32_e64 v36, v3, -v18
	v_fmac_f32_e32 v31, v14, v7
	v_fmac_f32_e32 v33, v20, v7
	v_dual_mul_f32 v4, v4, v40 :: v_dual_mul_f32 v17, v6, v26
	v_mul_f32_e64 v16, v6, -v27
	v_mul_f32_e64 v10, v6, -v13
	s_delay_alu instid0(VALU_DEP_3) | instskip(NEXT) | instid1(VALU_DEP_4)
	v_dual_fmac_f32 v32, v15, v7 :: v_dual_fmac_f32 v11, v13, v4
	v_fmac_f32_e32 v17, v27, v4
	v_mul_f32_e32 v34, v3, v20
	s_delay_alu instid0(VALU_DEP_4) | instskip(NEXT) | instid1(VALU_DEP_4)
	v_fmac_f32_e32 v10, v12, v4
	v_dual_mul_f32 v30, v6, v25 :: v_dual_sub_f32 v15, v23, v11
	s_delay_alu instid0(VALU_DEP_4) | instskip(NEXT) | instid1(VALU_DEP_4)
	v_sub_f32_e32 v13, v29, v17
	v_fmac_f32_e32 v34, v21, v7
	v_fmac_f32_e32 v16, v26, v4
	v_mul_f32_e64 v6, v6, -v24
	v_sub_f32_e32 v14, v22, v10
	v_fma_f32 v3, -v24, v4, v30
	v_sub_f32_e32 v11, v13, v34
	v_sub_f32_e32 v13, v15, v32
	;; [unrolled: 1-line block ×3, first 2 shown]
	v_fma_f32 v4, -v25, v4, v6
	v_fma_f32 v6, -v18, v7, v35
	;; [unrolled: 1-line block ×3, first 2 shown]
	s_delay_alu instid0(VALU_DEP_4)
	v_sub_f32_e32 v10, v12, v33
	v_sub_f32_e32 v12, v14, v31
	ds_store_b64 v8, v[10:11] offset:512
	ds_store_b64 v8, v[3:4]
	ds_store_b64 v9, v[12:13]
	;; [unrolled: 1-line block ×3, first 2 shown]
	s_waitcnt vmcnt(0) lgkmcnt(0)
	s_waitcnt_vscnt null, 0x0
	; wave barrier
	s_waitcnt lgkmcnt(0)
	buffer_gl0_inv
	ds_load_2addr_b64 v[10:13], v38 offset0:12 offset1:28
	ds_load_2addr_b64 v[14:17], v43 offset1:16
	ds_load_b64 v[3:4], v8
	ds_load_b64 v[6:7], v5
	s_waitcnt lgkmcnt(2)
	v_dual_mul_f32 v30, v11, v11 :: v_dual_mul_f32 v31, v17, v17
	s_delay_alu instid0(VALU_DEP_1) | instskip(NEXT) | instid1(VALU_DEP_1)
	v_dual_fmac_f32 v30, v10, v10 :: v_dual_fmac_f32 v31, v16, v16
	v_div_scale_f32 v32, null, v30, v30, 1.0
	s_delay_alu instid0(VALU_DEP_2) | instskip(SKIP_1) | instid1(VALU_DEP_3)
	v_div_scale_f32 v33, null, v31, v31, 1.0
	v_div_scale_f32 v36, vcc_lo, 1.0, v30, 1.0
	v_rcp_f32_e32 v34, v32
	s_delay_alu instid0(VALU_DEP_2) | instskip(SKIP_4) | instid1(VALU_DEP_1)
	v_rcp_f32_e32 v35, v33
	v_div_scale_f32 v37, s0, 1.0, v31, 1.0
	s_waitcnt_depctr 0xfff
	v_fma_f32 v18, -v32, v34, 1.0
	v_fma_f32 v19, -v33, v35, 1.0
	v_dual_fmac_f32 v34, v18, v34 :: v_dual_fmac_f32 v35, v19, v35
	v_subrev_nc_u32_e32 v18, 32, v38
	ds_load_b64 v[22:23], v9
	ds_load_b64 v[24:25], v18
	v_mul_f32_e32 v39, v36, v34
	ds_load_b64 v[26:27], v38 offset:480
	ds_load_b64 v[28:29], v8 offset:512
	ds_load_2addr_b64 v[18:21], v43 offset0:32 offset1:64
	s_waitcnt vmcnt(0) lgkmcnt(0)
	s_waitcnt_vscnt null, 0x0
	; wave barrier
	s_waitcnt lgkmcnt(0)
	buffer_gl0_inv
	v_fma_f32 v41, -v32, v39, v36
	s_delay_alu instid0(VALU_DEP_1) | instskip(SKIP_2) | instid1(VALU_DEP_3)
	v_fmac_f32_e32 v39, v41, v34
	v_mul_f32_e32 v41, v17, v7
	v_mul_f32_e64 v17, v17, -v6
	v_fma_f32 v32, -v32, v39, v36
	s_delay_alu instid0(VALU_DEP_3) | instskip(NEXT) | instid1(VALU_DEP_3)
	v_fmac_f32_e32 v41, v6, v16
	v_fmac_f32_e32 v17, v7, v16
	v_mul_f32_e32 v38, v11, v4
	v_mul_f32_e64 v11, v11, -v3
	v_mul_f32_e32 v40, v37, v35
	v_div_fmas_f32 v32, v32, v34, v39
	s_mov_b32 vcc_lo, s0
	v_fmac_f32_e32 v38, v3, v10
	v_fmac_f32_e32 v11, v4, v10
	v_fma_f32 v42, -v33, v40, v37
	v_div_fixup_f32 v4, v32, v30, 1.0
	s_delay_alu instid0(VALU_DEP_2) | instskip(NEXT) | instid1(VALU_DEP_1)
	v_fmac_f32_e32 v40, v42, v35
	v_fma_f32 v33, -v33, v40, v37
	s_delay_alu instid0(VALU_DEP_1) | instskip(NEXT) | instid1(VALU_DEP_1)
	v_div_fmas_f32 v33, v33, v35, v40
	v_div_fixup_f32 v3, v33, v31, 1.0
	s_delay_alu instid0(VALU_DEP_1) | instskip(SKIP_1) | instid1(VALU_DEP_1)
	v_mul_f32_e32 v7, v3, v41
	v_mul_f32_e32 v3, v17, v3
	v_mul_f32_e64 v31, v3, -v15
	v_mul_f32_e32 v6, v11, v4
	v_mul_f32_e32 v34, v3, v20
	v_mul_f32_e64 v33, v3, -v21
	v_mul_f32_e32 v35, v3, v19
	v_dual_fmac_f32 v31, v14, v7 :: v_dual_mul_f32 v4, v4, v38
	v_mul_f32_e32 v11, v6, v12
	v_mul_f32_e64 v16, v6, -v27
	v_mul_f32_e32 v17, v6, v26
	v_mul_f32_e64 v10, v6, -v13
	s_delay_alu instid0(VALU_DEP_4) | instskip(NEXT) | instid1(VALU_DEP_4)
	v_dual_mul_f32 v32, v3, v14 :: v_dual_fmac_f32 v11, v13, v4
	v_dual_fmac_f32 v16, v26, v4 :: v_dual_fmac_f32 v33, v20, v7
	s_delay_alu instid0(VALU_DEP_4) | instskip(NEXT) | instid1(VALU_DEP_4)
	v_dual_fmac_f32 v17, v27, v4 :: v_dual_fmac_f32 v34, v21, v7
	v_fmac_f32_e32 v10, v12, v4
	s_delay_alu instid0(VALU_DEP_3) | instskip(SKIP_1) | instid1(VALU_DEP_4)
	v_sub_f32_e32 v12, v28, v16
	v_mul_f32_e32 v30, v6, v25
	v_sub_f32_e32 v13, v29, v17
	v_mul_f32_e64 v6, v6, -v24
	v_fmac_f32_e32 v32, v15, v7
	v_dual_sub_f32 v15, v23, v11 :: v_dual_sub_f32 v14, v22, v10
	v_mul_f32_e64 v36, v3, -v18
	v_dual_sub_f32 v10, v12, v33 :: v_dual_sub_f32 v11, v13, v34
	s_delay_alu instid0(VALU_DEP_3)
	v_sub_f32_e32 v13, v15, v32
	v_fma_f32 v3, -v24, v4, v30
	v_fma_f32 v4, -v25, v4, v6
	v_sub_f32_e32 v12, v14, v31
	v_fma_f32 v6, -v18, v7, v35
	v_fma_f32 v7, -v19, v7, v36
	ds_store_b64 v8, v[10:11] offset:512
	ds_store_b64 v8, v[3:4]
	ds_store_b64 v9, v[12:13]
	ds_store_b64 v5, v[6:7]
	s_waitcnt vmcnt(0) lgkmcnt(0)
	s_waitcnt_vscnt null, 0x0
	; wave barrier
	s_waitcnt lgkmcnt(0)
	buffer_gl0_inv
	s_and_saveexec_b32 s0, s1
	s_cbranch_execz .LBB53_14
; %bb.9:
	v_or_b32_e32 v6, 8, v0
	v_or_b32_e32 v7, 0x200, v8
	s_mov_b32 s1, exec_lo
                                        ; implicit-def: $vgpr4
	s_delay_alu instid0(VALU_DEP_2)
	v_cmpx_le_i32_e64 s3, v6
	s_xor_b32 s1, exec_lo, s1
	s_cbranch_execz .LBB53_11
; %bb.10:
	ds_load_b64 v[3:4], v9
	s_waitcnt lgkmcnt(0)
	v_mul_f32_e32 v9, v4, v4
	s_delay_alu instid0(VALU_DEP_1) | instskip(NEXT) | instid1(VALU_DEP_1)
	v_fmac_f32_e32 v9, v3, v3
	v_div_scale_f32 v10, null, v9, v9, 1.0
	v_div_scale_f32 v12, vcc_lo, 1.0, v9, 1.0
	s_delay_alu instid0(VALU_DEP_2) | instskip(SKIP_2) | instid1(VALU_DEP_1)
	v_rcp_f32_e32 v11, v10
	s_waitcnt_depctr 0xfff
	v_fma_f32 v5, -v10, v11, 1.0
	v_fmac_f32_e32 v11, v5, v11
	ds_load_b64 v[5:6], v7
	v_mul_f32_e32 v7, v12, v11
	s_delay_alu instid0(VALU_DEP_1) | instskip(NEXT) | instid1(VALU_DEP_1)
	v_fma_f32 v13, -v10, v7, v12
	v_fmac_f32_e32 v7, v13, v11
	s_delay_alu instid0(VALU_DEP_1) | instskip(SKIP_3) | instid1(VALU_DEP_3)
	v_fma_f32 v10, -v10, v7, v12
	s_waitcnt lgkmcnt(0)
	v_mul_f32_e32 v12, v4, v6
	v_mul_f32_e64 v4, v4, -v5
	v_div_fmas_f32 v7, v10, v11, v7
	s_delay_alu instid0(VALU_DEP_3) | instskip(NEXT) | instid1(VALU_DEP_2)
	v_fmac_f32_e32 v12, v5, v3
	v_div_fixup_f32 v5, v7, v9, 1.0
	s_delay_alu instid0(VALU_DEP_4) | instskip(NEXT) | instid1(VALU_DEP_1)
	v_fmac_f32_e32 v4, v6, v3
                                        ; implicit-def: $vgpr9
                                        ; implicit-def: $vgpr7
                                        ; implicit-def: $vgpr6
	v_dual_mul_f32 v3, v5, v12 :: v_dual_mul_f32 v4, v4, v5
                                        ; implicit-def: $vgpr5
.LBB53_11:
	s_and_not1_saveexec_b32 s1, s1
	s_cbranch_execz .LBB53_13
; %bb.12:
	ds_load_2addr_b64 v[9:12], v9 offset1:8
	ds_load_b64 v[3:4], v5
	ds_load_b64 v[17:18], v8 offset:64
	s_waitcnt lgkmcnt(2)
	v_mul_f32_e64 v13, v10, -v12
	s_waitcnt lgkmcnt(0)
	v_mul_f32_e32 v5, v18, v3
	v_mul_f32_e32 v0, v10, v11
	v_mul_f32_e64 v14, v18, -v4
	v_fmac_f32_e32 v13, v11, v9
	s_delay_alu instid0(VALU_DEP_4) | instskip(NEXT) | instid1(VALU_DEP_4)
	v_fmac_f32_e32 v5, v4, v17
	v_fmac_f32_e32 v0, v12, v9
	s_delay_alu instid0(VALU_DEP_1) | instskip(NEXT) | instid1(VALU_DEP_1)
	v_sub_f32_e32 v0, v0, v5
	v_dual_fmac_f32 v14, v3, v17 :: v_dual_mul_f32 v19, v0, v0
	s_delay_alu instid0(VALU_DEP_1)
	v_sub_f32_e32 v5, v13, v14
	ds_load_2addr_b64 v[13:16], v7 offset1:8
	s_waitcnt lgkmcnt(0)
	v_mul_f32_e64 v26, v16, -v4
	v_fmac_f32_e32 v19, v5, v5
	v_mul_f32_e32 v27, v16, v3
	v_mul_f32_e64 v28, v10, -v16
	v_mul_f32_e64 v23, v14, -v12
	v_fmac_f32_e32 v26, v3, v15
	v_div_scale_f32 v20, null, v19, v19, 1.0
	v_div_scale_f32 v22, vcc_lo, 1.0, v19, 1.0
	v_fmac_f32_e32 v27, v4, v15
	s_delay_alu instid0(VALU_DEP_3)
	v_rcp_f32_e32 v21, v20
	v_fma_f32 v4, v5, 0, -v0
	v_dual_mul_f32 v25, v14, v11 :: v_dual_fmac_f32 v28, v15, v9
	v_fma_f32 v0, 0, v0, v5
	v_dual_fmac_f32 v23, v11, v13 :: v_dual_mul_f32 v10, v10, v15
	s_waitcnt_depctr 0xfff
	v_fma_f32 v7, -v20, v21, 1.0
	v_sub_f32_e32 v5, v23, v26
	s_delay_alu instid0(VALU_DEP_2) | instskip(NEXT) | instid1(VALU_DEP_1)
	v_fmac_f32_e32 v21, v7, v21
	v_mul_f32_e32 v7, v22, v21
	s_delay_alu instid0(VALU_DEP_1) | instskip(NEXT) | instid1(VALU_DEP_1)
	v_fma_f32 v24, -v20, v7, v22
	v_fmac_f32_e32 v7, v24, v21
	v_mul_f32_e64 v24, v18, -v14
	v_mul_f32_e32 v18, v18, v13
	s_delay_alu instid0(VALU_DEP_3) | instskip(NEXT) | instid1(VALU_DEP_3)
	v_fma_f32 v11, -v20, v7, v22
	v_fmac_f32_e32 v24, v13, v17
	v_fmac_f32_e32 v10, v16, v9
	s_delay_alu instid0(VALU_DEP_3) | instskip(NEXT) | instid1(VALU_DEP_1)
	v_div_fmas_f32 v3, v11, v21, v7
	v_div_fixup_f32 v3, v3, v19, 1.0
	s_delay_alu instid0(VALU_DEP_1) | instskip(SKIP_2) | instid1(VALU_DEP_1)
	v_mul_f32_e32 v4, v4, v3
	v_mul_f32_e32 v0, v0, v3
	v_fmac_f32_e32 v18, v14, v17
	v_dual_sub_f32 v11, v10, v18 :: v_dual_mul_f32 v10, v5, v4
	v_fmac_f32_e32 v25, v12, v13
	v_sub_f32_e32 v12, v28, v24
	s_delay_alu instid0(VALU_DEP_3) | instskip(NEXT) | instid1(VALU_DEP_3)
	v_mul_f32_e64 v3, v4, -v11
	v_sub_f32_e32 v7, v25, v27
	s_delay_alu instid0(VALU_DEP_2) | instskip(NEXT) | instid1(VALU_DEP_2)
	v_fmac_f32_e32 v3, v12, v0
	v_mul_f32_e64 v9, v4, -v7
	v_mul_f32_e32 v4, v4, v12
	v_fmac_f32_e32 v10, v7, v0
	s_delay_alu instid0(VALU_DEP_3) | instskip(NEXT) | instid1(VALU_DEP_3)
	v_fmac_f32_e32 v9, v5, v0
	v_fmac_f32_e32 v4, v11, v0
	v_mov_b32_e32 v0, v6
	ds_store_b64 v8, v[9:10] offset:384
.LBB53_13:
	s_or_b32 exec_lo, exec_lo, s1
	v_lshlrev_b32_e32 v0, 3, v0
	ds_store_b64 v0, v[3:4] offset:384
.LBB53_14:
	s_or_b32 exec_lo, exec_lo, s0
	s_waitcnt vmcnt(0) lgkmcnt(0)
	s_waitcnt_vscnt null, 0x0
	; wave barrier
	s_waitcnt lgkmcnt(0)
	buffer_gl0_inv
	s_and_saveexec_b32 s0, s2
	s_cbranch_execz .LBB53_16
; %bb.15:
	ds_load_b64 v[3:4], v8 offset:384
	v_lshlrev_b64 v[0:1], 3, v[1:2]
	s_delay_alu instid0(VALU_DEP_1) | instskip(NEXT) | instid1(VALU_DEP_2)
	v_add_co_u32 v0, vcc_lo, s4, v0
	v_add_co_ci_u32_e32 v1, vcc_lo, s5, v1, vcc_lo
	s_waitcnt lgkmcnt(0)
	global_store_b64 v[0:1], v[3:4], off
.LBB53_16:
	s_nop 0
	s_sendmsg sendmsg(MSG_DEALLOC_VGPRS)
	s_endpgm
	.section	.rodata,"a",@progbits
	.p2align	6, 0x0
	.amdhsa_kernel _ZN9rocsparseL44gtsv_nopivot_strided_batch_pcr_shared_kernelILj16E21rocsparse_complex_numIfEEEviiiPKT0_S5_S5_PS3_
		.amdhsa_group_segment_fixed_size 640
		.amdhsa_private_segment_fixed_size 0
		.amdhsa_kernarg_size 48
		.amdhsa_user_sgpr_count 15
		.amdhsa_user_sgpr_dispatch_ptr 0
		.amdhsa_user_sgpr_queue_ptr 0
		.amdhsa_user_sgpr_kernarg_segment_ptr 1
		.amdhsa_user_sgpr_dispatch_id 0
		.amdhsa_user_sgpr_private_segment_size 0
		.amdhsa_wavefront_size32 1
		.amdhsa_uses_dynamic_stack 0
		.amdhsa_enable_private_segment 0
		.amdhsa_system_sgpr_workgroup_id_x 1
		.amdhsa_system_sgpr_workgroup_id_y 0
		.amdhsa_system_sgpr_workgroup_id_z 0
		.amdhsa_system_sgpr_workgroup_info 0
		.amdhsa_system_vgpr_workitem_id 0
		.amdhsa_next_free_vgpr 46
		.amdhsa_next_free_sgpr 16
		.amdhsa_reserve_vcc 1
		.amdhsa_float_round_mode_32 0
		.amdhsa_float_round_mode_16_64 0
		.amdhsa_float_denorm_mode_32 3
		.amdhsa_float_denorm_mode_16_64 3
		.amdhsa_dx10_clamp 1
		.amdhsa_ieee_mode 1
		.amdhsa_fp16_overflow 0
		.amdhsa_workgroup_processor_mode 1
		.amdhsa_memory_ordered 1
		.amdhsa_forward_progress 0
		.amdhsa_shared_vgpr_count 0
		.amdhsa_exception_fp_ieee_invalid_op 0
		.amdhsa_exception_fp_denorm_src 0
		.amdhsa_exception_fp_ieee_div_zero 0
		.amdhsa_exception_fp_ieee_overflow 0
		.amdhsa_exception_fp_ieee_underflow 0
		.amdhsa_exception_fp_ieee_inexact 0
		.amdhsa_exception_int_div_zero 0
	.end_amdhsa_kernel
	.section	.text._ZN9rocsparseL44gtsv_nopivot_strided_batch_pcr_shared_kernelILj16E21rocsparse_complex_numIfEEEviiiPKT0_S5_S5_PS3_,"axG",@progbits,_ZN9rocsparseL44gtsv_nopivot_strided_batch_pcr_shared_kernelILj16E21rocsparse_complex_numIfEEEviiiPKT0_S5_S5_PS3_,comdat
.Lfunc_end53:
	.size	_ZN9rocsparseL44gtsv_nopivot_strided_batch_pcr_shared_kernelILj16E21rocsparse_complex_numIfEEEviiiPKT0_S5_S5_PS3_, .Lfunc_end53-_ZN9rocsparseL44gtsv_nopivot_strided_batch_pcr_shared_kernelILj16E21rocsparse_complex_numIfEEEviiiPKT0_S5_S5_PS3_
                                        ; -- End function
	.section	.AMDGPU.csdata,"",@progbits
; Kernel info:
; codeLenInByte = 3028
; NumSgprs: 18
; NumVgprs: 46
; ScratchSize: 0
; MemoryBound: 0
; FloatMode: 240
; IeeeMode: 1
; LDSByteSize: 640 bytes/workgroup (compile time only)
; SGPRBlocks: 2
; VGPRBlocks: 5
; NumSGPRsForWavesPerEU: 18
; NumVGPRsForWavesPerEU: 46
; Occupancy: 16
; WaveLimiterHint : 0
; COMPUTE_PGM_RSRC2:SCRATCH_EN: 0
; COMPUTE_PGM_RSRC2:USER_SGPR: 15
; COMPUTE_PGM_RSRC2:TRAP_HANDLER: 0
; COMPUTE_PGM_RSRC2:TGID_X_EN: 1
; COMPUTE_PGM_RSRC2:TGID_Y_EN: 0
; COMPUTE_PGM_RSRC2:TGID_Z_EN: 0
; COMPUTE_PGM_RSRC2:TIDIG_COMP_CNT: 0
	.section	.text._ZN9rocsparseL44gtsv_nopivot_strided_batch_pcr_shared_kernelILj32E21rocsparse_complex_numIfEEEviiiPKT0_S5_S5_PS3_,"axG",@progbits,_ZN9rocsparseL44gtsv_nopivot_strided_batch_pcr_shared_kernelILj32E21rocsparse_complex_numIfEEEviiiPKT0_S5_S5_PS3_,comdat
	.globl	_ZN9rocsparseL44gtsv_nopivot_strided_batch_pcr_shared_kernelILj32E21rocsparse_complex_numIfEEEviiiPKT0_S5_S5_PS3_ ; -- Begin function _ZN9rocsparseL44gtsv_nopivot_strided_batch_pcr_shared_kernelILj32E21rocsparse_complex_numIfEEEviiiPKT0_S5_S5_PS3_
	.p2align	8
	.type	_ZN9rocsparseL44gtsv_nopivot_strided_batch_pcr_shared_kernelILj32E21rocsparse_complex_numIfEEEviiiPKT0_S5_S5_PS3_,@function
_ZN9rocsparseL44gtsv_nopivot_strided_batch_pcr_shared_kernelILj32E21rocsparse_complex_numIfEEEviiiPKT0_S5_S5_PS3_: ; @_ZN9rocsparseL44gtsv_nopivot_strided_batch_pcr_shared_kernelILj32E21rocsparse_complex_numIfEEEviiiPKT0_S5_S5_PS3_
; %bb.0:
	s_clause 0x1
	s_load_b32 s2, s[0:1], 0x8
	s_load_b32 s3, s[0:1], 0x0
	v_dual_mov_b32 v4, 0 :: v_dual_mov_b32 v7, 0
	v_mov_b32_e32 v6, 0
	s_waitcnt lgkmcnt(0)
	v_mad_u64_u32 v[1:2], null, s15, s2, v[0:1]
	v_cmp_gt_i32_e64 s2, s3, v0
	s_delay_alu instid0(VALU_DEP_2) | instskip(NEXT) | instid1(VALU_DEP_2)
	v_ashrrev_i32_e32 v2, 31, v1
	s_and_saveexec_b32 s4, s2
	s_cbranch_execz .LBB54_2
; %bb.1:
	s_load_b64 s[6:7], s[0:1], 0x10
	s_delay_alu instid0(VALU_DEP_1) | instskip(SKIP_1) | instid1(VALU_DEP_1)
	v_lshlrev_b64 v[5:6], 3, v[1:2]
	s_waitcnt lgkmcnt(0)
	v_add_co_u32 v5, vcc_lo, s6, v5
	s_delay_alu instid0(VALU_DEP_2)
	v_add_co_ci_u32_e32 v6, vcc_lo, s7, v6, vcc_lo
	global_load_b64 v[6:7], v[5:6], off
.LBB54_2:
	s_or_b32 exec_lo, exec_lo, s4
	v_dual_mov_b32 v5, 0 :: v_dual_lshlrev_b32 v8, 3, v0
	s_waitcnt vmcnt(0)
	ds_store_b64 v8, v[6:7]
	s_and_saveexec_b32 s4, s2
	s_cbranch_execz .LBB54_4
; %bb.3:
	s_load_b64 s[6:7], s[0:1], 0x18
	v_lshlrev_b64 v[3:4], 3, v[1:2]
	s_waitcnt lgkmcnt(0)
	s_delay_alu instid0(VALU_DEP_1) | instskip(NEXT) | instid1(VALU_DEP_2)
	v_add_co_u32 v3, vcc_lo, s6, v3
	v_add_co_ci_u32_e32 v4, vcc_lo, s7, v4, vcc_lo
	global_load_b64 v[4:5], v[3:4], off
.LBB54_4:
	s_or_b32 exec_lo, exec_lo, s4
	s_load_b64 s[4:5], s[0:1], 0x28
	v_dual_mov_b32 v3, 0 :: v_dual_mov_b32 v6, 0
	v_mov_b32_e32 v7, 0
	s_waitcnt vmcnt(0)
	ds_store_b64 v8, v[4:5] offset:256
	s_and_saveexec_b32 s6, s2
	s_cbranch_execz .LBB54_6
; %bb.5:
	s_load_b64 s[0:1], s[0:1], 0x20
	v_lshlrev_b64 v[4:5], 3, v[1:2]
	s_waitcnt lgkmcnt(0)
	s_delay_alu instid0(VALU_DEP_1) | instskip(NEXT) | instid1(VALU_DEP_2)
	v_add_co_u32 v4, vcc_lo, s0, v4
	v_add_co_ci_u32_e32 v5, vcc_lo, s1, v5, vcc_lo
	global_load_b64 v[6:7], v[4:5], off
.LBB54_6:
	s_or_b32 exec_lo, exec_lo, s6
	v_or_b32_e32 v9, 0x100, v8
	v_or_b32_e32 v5, 0x200, v8
	v_mov_b32_e32 v4, 0
	s_waitcnt vmcnt(0)
	ds_store_b64 v8, v[6:7] offset:512
	s_and_saveexec_b32 s0, s2
	s_cbranch_execz .LBB54_8
; %bb.7:
	v_lshlrev_b64 v[3:4], 3, v[1:2]
	s_waitcnt lgkmcnt(0)
	s_delay_alu instid0(VALU_DEP_1) | instskip(NEXT) | instid1(VALU_DEP_2)
	v_add_co_u32 v3, vcc_lo, s4, v3
	v_add_co_ci_u32_e32 v4, vcc_lo, s5, v4, vcc_lo
	global_load_b64 v[3:4], v[3:4], off
.LBB54_8:
	s_or_b32 exec_lo, exec_lo, s0
	v_add_nc_u32_e32 v6, 1, v0
	s_add_i32 s6, s3, -1
	v_max_u32_e32 v7, 1, v0
	s_waitcnt vmcnt(0)
	ds_store_b64 v8, v[3:4] offset:1024
	s_waitcnt lgkmcnt(0)
	v_cmp_gt_i32_e32 vcc_lo, s3, v6
	; wave barrier
	buffer_gl0_inv
	v_lshlrev_b32_e32 v18, 3, v7
	v_max_u32_e32 v21, 2, v0
	v_cndmask_b32_e32 v6, s6, v6, vcc_lo
	s_delay_alu instid0(VALU_DEP_1)
	v_lshlrev_b32_e32 v19, 3, v6
	ds_load_2addr_b64 v[10:13], v18 offset0:31 offset1:63
	ds_load_2addr_b64 v[14:17], v19 offset1:32
	ds_load_b64 v[3:4], v8
	ds_load_b64 v[6:7], v5
	;; [unrolled: 1-line block ×3, first 2 shown]
	s_waitcnt lgkmcnt(3)
	v_dual_mul_f32 v30, v11, v11 :: v_dual_mul_f32 v31, v17, v17
	s_waitcnt lgkmcnt(2)
	v_mul_f32_e64 v43, v11, -v3
	v_dual_mul_f32 v11, v11, v4 :: v_dual_lshlrev_b32 v40, 3, v21
	s_delay_alu instid0(VALU_DEP_3) | instskip(NEXT) | instid1(VALU_DEP_3)
	v_fmac_f32_e32 v31, v16, v16
	v_fmac_f32_e32 v43, v4, v10
	s_delay_alu instid0(VALU_DEP_3) | instskip(NEXT) | instid1(VALU_DEP_3)
	v_fmac_f32_e32 v11, v3, v10
	v_div_scale_f32 v33, null, v31, v31, 1.0
	v_div_scale_f32 v37, s0, 1.0, v31, 1.0
	s_delay_alu instid0(VALU_DEP_2) | instskip(SKIP_2) | instid1(VALU_DEP_1)
	v_rcp_f32_e32 v35, v33
	s_waitcnt_depctr 0xfff
	v_fma_f32 v25, -v33, v35, 1.0
	v_dual_fmac_f32 v30, v10, v10 :: v_dual_fmac_f32 v35, v25, v35
	s_delay_alu instid0(VALU_DEP_1) | instskip(SKIP_2) | instid1(VALU_DEP_4)
	v_div_scale_f32 v32, null, v30, v30, 1.0
	v_add_nc_u32_e32 v20, 2, v0
	v_div_scale_f32 v36, vcc_lo, 1.0, v30, 1.0
	v_mul_f32_e32 v39, v37, v35
	s_delay_alu instid0(VALU_DEP_4) | instskip(NEXT) | instid1(VALU_DEP_3)
	v_rcp_f32_e32 v34, v32
	v_cmp_gt_i32_e64 s1, s3, v20
	s_delay_alu instid0(VALU_DEP_2) | instskip(NEXT) | instid1(VALU_DEP_2)
	v_fma_f32 v42, -v33, v39, v37
	v_cndmask_b32_e64 v20, s6, v20, s1
	s_delay_alu instid0(VALU_DEP_2) | instskip(SKIP_4) | instid1(VALU_DEP_3)
	v_fmac_f32_e32 v39, v42, v35
	s_waitcnt_depctr 0xfff
	v_fma_f32 v24, -v32, v34, 1.0
	v_lshlrev_b32_e32 v41, 3, v20
	v_fma_f32 v33, -v33, v39, v37
	v_fmac_f32_e32 v34, v24, v34
	v_add_nc_u32_e32 v24, -8, v18
	s_delay_alu instid0(VALU_DEP_2) | instskip(SKIP_4) | instid1(VALU_DEP_1)
	v_mul_f32_e32 v38, v36, v34
	ds_load_b64 v[24:25], v24
	ds_load_b64 v[26:27], v18 offset:1016
	ds_load_b64 v[28:29], v8 offset:1024
	v_fma_f32 v20, -v32, v38, v36
	v_fmac_f32_e32 v38, v20, v34
	ds_load_2addr_stride64_b64 v[18:21], v19 offset0:1 offset1:2
	s_waitcnt vmcnt(0) lgkmcnt(0)
	s_waitcnt_vscnt null, 0x0
	; wave barrier
	s_waitcnt lgkmcnt(0)
	buffer_gl0_inv
	v_fma_f32 v4, -v32, v38, v36
	v_mul_f32_e32 v32, v17, v7
	v_mul_f32_e64 v17, v17, -v6
	s_delay_alu instid0(VALU_DEP_3) | instskip(SKIP_1) | instid1(VALU_DEP_2)
	v_div_fmas_f32 v4, v4, v34, v38
	s_mov_b32 vcc_lo, s0
	v_fmac_f32_e32 v17, v7, v16
	v_div_fmas_f32 v33, v33, v35, v39
	v_fmac_f32_e32 v32, v6, v16
	v_div_fixup_f32 v4, v4, v30, 1.0
	s_delay_alu instid0(VALU_DEP_3) | instskip(NEXT) | instid1(VALU_DEP_1)
	v_div_fixup_f32 v3, v33, v31, 1.0
	v_mul_f32_e32 v10, v17, v3
	s_delay_alu instid0(VALU_DEP_3) | instskip(SKIP_1) | instid1(VALU_DEP_2)
	v_mul_f32_e32 v6, v43, v4
	v_mul_f32_e32 v4, v4, v11
	v_mul_f32_e64 v11, v6, -v13
	v_mul_f32_e32 v16, v6, v12
	s_delay_alu instid0(VALU_DEP_2) | instskip(NEXT) | instid1(VALU_DEP_2)
	v_fmac_f32_e32 v11, v12, v4
	v_dual_fmac_f32 v16, v13, v4 :: v_dual_mul_f32 v13, v10, v14
	v_mul_f32_e32 v30, v6, v26
	v_mul_f32_e64 v17, v6, -v27
	s_delay_alu instid0(VALU_DEP_4) | instskip(SKIP_1) | instid1(VALU_DEP_4)
	v_sub_f32_e32 v22, v22, v11
	v_mul_f32_e64 v12, v10, -v15
	v_fmac_f32_e32 v30, v27, v4
	s_delay_alu instid0(VALU_DEP_1)
	v_sub_f32_e32 v11, v29, v30
	v_mul_f32_e32 v7, v3, v32
	v_mul_f32_e32 v3, v6, v25
	v_fmac_f32_e32 v17, v26, v4
	v_mul_f32_e64 v26, v10, -v21
	v_mul_f32_e64 v6, v6, -v24
	v_fmac_f32_e32 v12, v14, v7
	v_fma_f32 v3, -v24, v4, v3
	v_mul_f32_e64 v24, v10, -v18
	v_dual_fmac_f32 v26, v20, v7 :: v_dual_mul_f32 v27, v10, v20
	v_fma_f32 v4, -v25, v4, v6
	v_mul_f32_e32 v6, v10, v19
	v_dual_sub_f32 v10, v28, v17 :: v_dual_fmac_f32 v13, v15, v7
	s_delay_alu instid0(VALU_DEP_4) | instskip(NEXT) | instid1(VALU_DEP_3)
	v_fmac_f32_e32 v27, v21, v7
	v_fma_f32 v6, -v18, v7, v6
	v_fma_f32 v7, -v19, v7, v24
	v_max_u32_e32 v19, 4, v0
	s_delay_alu instid0(VALU_DEP_4)
	v_sub_f32_e32 v11, v11, v27
	v_sub_f32_e32 v16, v23, v16
	;; [unrolled: 1-line block ×3, first 2 shown]
	v_add_nc_u32_e32 v18, 4, v0
	v_lshlrev_b32_e32 v38, 3, v19
	v_add_nc_u32_e32 v19, -16, v40
	v_dual_sub_f32 v12, v22, v12 :: v_dual_sub_f32 v13, v16, v13
	ds_store_b64 v8, v[10:11] offset:1024
	ds_store_b64 v8, v[3:4]
	ds_store_b64 v9, v[12:13]
	;; [unrolled: 1-line block ×3, first 2 shown]
	s_waitcnt vmcnt(0) lgkmcnt(0)
	s_waitcnt_vscnt null, 0x0
	; wave barrier
	s_waitcnt lgkmcnt(0)
	buffer_gl0_inv
	ds_load_2addr_b64 v[10:13], v40 offset0:30 offset1:62
	ds_load_2addr_b64 v[14:17], v41 offset1:32
	v_cmp_gt_i32_e64 s1, s3, v18
	ds_load_b64 v[3:4], v8
	ds_load_b64 v[6:7], v5
	;; [unrolled: 1-line block ×4, first 2 shown]
	v_cndmask_b32_e64 v18, s6, v18, s1
	s_waitcnt lgkmcnt(5)
	s_delay_alu instid0(VALU_DEP_1) | instskip(SKIP_1) | instid1(VALU_DEP_1)
	v_dual_mul_f32 v30, v11, v11 :: v_dual_lshlrev_b32 v43, 3, v18
	s_waitcnt lgkmcnt(4)
	v_dual_mul_f32 v31, v17, v17 :: v_dual_fmac_f32 v30, v10, v10
	s_delay_alu instid0(VALU_DEP_1) | instskip(NEXT) | instid1(VALU_DEP_2)
	v_fmac_f32_e32 v31, v16, v16
	v_div_scale_f32 v32, null, v30, v30, 1.0
	s_delay_alu instid0(VALU_DEP_2) | instskip(SKIP_1) | instid1(VALU_DEP_3)
	v_div_scale_f32 v33, null, v31, v31, 1.0
	v_div_scale_f32 v37, s0, 1.0, v31, 1.0
	v_rcp_f32_e32 v34, v32
	s_delay_alu instid0(VALU_DEP_2) | instskip(SKIP_3) | instid1(VALU_DEP_1)
	v_rcp_f32_e32 v35, v33
	s_waitcnt_depctr 0xfff
	v_fma_f32 v20, -v32, v34, 1.0
	v_fma_f32 v21, -v33, v35, 1.0
	v_dual_fmac_f32 v34, v20, v34 :: v_dual_fmac_f32 v35, v21, v35
	ds_load_b64 v[26:27], v40 offset:1008
	ds_load_b64 v[28:29], v8 offset:1024
	ds_load_2addr_stride64_b64 v[18:21], v41 offset0:1 offset1:2
	s_waitcnt lgkmcnt(5)
	v_mul_f32_e32 v41, v17, v7
	v_mul_f32_e64 v17, v17, -v6
	s_waitcnt vmcnt(0) lgkmcnt(0)
	s_waitcnt_vscnt null, 0x0
	; wave barrier
	s_waitcnt lgkmcnt(0)
	buffer_gl0_inv
	v_fmac_f32_e32 v41, v6, v16
	v_fmac_f32_e32 v17, v7, v16
	v_div_scale_f32 v36, vcc_lo, 1.0, v30, 1.0
	v_mul_f32_e32 v42, v37, v35
	v_mul_f32_e32 v40, v11, v4
	v_mul_f32_e64 v11, v11, -v3
	s_delay_alu instid0(VALU_DEP_4) | instskip(NEXT) | instid1(VALU_DEP_4)
	v_mul_f32_e32 v39, v36, v34
	v_fma_f32 v45, -v33, v42, v37
	s_delay_alu instid0(VALU_DEP_3) | instskip(NEXT) | instid1(VALU_DEP_3)
	v_fmac_f32_e32 v11, v4, v10
	v_fma_f32 v44, -v32, v39, v36
	s_delay_alu instid0(VALU_DEP_1) | instskip(NEXT) | instid1(VALU_DEP_1)
	v_fmac_f32_e32 v39, v44, v34
	v_fma_f32 v32, -v32, v39, v36
	s_delay_alu instid0(VALU_DEP_1) | instskip(SKIP_1) | instid1(VALU_DEP_1)
	v_div_fmas_f32 v32, v32, v34, v39
	s_mov_b32 vcc_lo, s0
	v_div_fixup_f32 v4, v32, v30, 1.0
	s_delay_alu instid0(VALU_DEP_1) | instskip(NEXT) | instid1(VALU_DEP_1)
	v_mul_f32_e32 v6, v11, v4
	v_dual_fmac_f32 v42, v45, v35 :: v_dual_mul_f32 v11, v6, v12
	s_delay_alu instid0(VALU_DEP_1) | instskip(SKIP_1) | instid1(VALU_DEP_2)
	v_fma_f32 v33, -v33, v42, v37
	v_fmac_f32_e32 v40, v3, v10
	v_div_fmas_f32 v33, v33, v35, v42
	s_delay_alu instid0(VALU_DEP_1) | instskip(NEXT) | instid1(VALU_DEP_1)
	v_div_fixup_f32 v3, v33, v31, 1.0
	v_mul_f32_e32 v7, v3, v41
	v_mul_f32_e32 v3, v17, v3
	s_delay_alu instid0(VALU_DEP_1)
	v_mul_f32_e64 v31, v3, -v15
	v_mul_f32_e64 v33, v3, -v21
	v_mul_f32_e32 v32, v3, v14
	v_mul_f32_e32 v35, v3, v19
	v_mul_f32_e64 v36, v3, -v18
	v_fmac_f32_e32 v31, v14, v7
	v_fmac_f32_e32 v33, v20, v7
	v_dual_mul_f32 v4, v4, v40 :: v_dual_mul_f32 v17, v6, v26
	v_mul_f32_e64 v16, v6, -v27
	v_mul_f32_e64 v10, v6, -v13
	s_delay_alu instid0(VALU_DEP_3) | instskip(NEXT) | instid1(VALU_DEP_4)
	v_dual_mul_f32 v30, v6, v25 :: v_dual_fmac_f32 v11, v13, v4
	v_fmac_f32_e32 v17, v27, v4
	v_mul_f32_e32 v34, v3, v20
	s_delay_alu instid0(VALU_DEP_4) | instskip(SKIP_1) | instid1(VALU_DEP_4)
	v_fmac_f32_e32 v10, v12, v4
	v_mul_f32_e64 v6, v6, -v24
	v_dual_fmac_f32 v32, v15, v7 :: v_dual_sub_f32 v13, v29, v17
	s_delay_alu instid0(VALU_DEP_4) | instskip(SKIP_3) | instid1(VALU_DEP_3)
	v_fmac_f32_e32 v34, v21, v7
	v_dual_fmac_f32 v16, v26, v4 :: v_dual_sub_f32 v15, v23, v11
	v_sub_f32_e32 v14, v22, v10
	v_fma_f32 v3, -v24, v4, v30
	v_dual_sub_f32 v11, v13, v34 :: v_dual_sub_f32 v12, v28, v16
	v_fma_f32 v4, -v25, v4, v6
	v_fma_f32 v6, -v18, v7, v35
	;; [unrolled: 1-line block ×3, first 2 shown]
	v_max_u32_e32 v19, 8, v0
	v_dual_sub_f32 v10, v12, v33 :: v_dual_sub_f32 v13, v15, v32
	v_sub_f32_e32 v12, v14, v31
	s_delay_alu instid0(VALU_DEP_3)
	v_lshlrev_b32_e32 v39, 3, v19
	ds_store_b64 v8, v[10:11] offset:1024
	ds_store_b64 v8, v[3:4]
	ds_store_b64 v9, v[12:13]
	;; [unrolled: 1-line block ×3, first 2 shown]
	s_waitcnt vmcnt(0) lgkmcnt(0)
	s_waitcnt_vscnt null, 0x0
	; wave barrier
	s_waitcnt lgkmcnt(0)
	buffer_gl0_inv
	ds_load_2addr_b64 v[10:13], v38 offset0:28 offset1:60
	ds_load_2addr_b64 v[14:17], v43 offset1:32
	ds_load_b64 v[3:4], v8
	ds_load_b64 v[6:7], v5
	v_subrev_nc_u32_e32 v19, 32, v38
	ds_load_b64 v[22:23], v9
	ds_load_b64 v[24:25], v19
	s_waitcnt lgkmcnt(4)
	v_dual_mul_f32 v30, v11, v11 :: v_dual_mul_f32 v31, v17, v17
	s_delay_alu instid0(VALU_DEP_1) | instskip(NEXT) | instid1(VALU_DEP_1)
	v_fmac_f32_e32 v31, v16, v16
	v_div_scale_f32 v33, null, v31, v31, 1.0
	v_div_scale_f32 v37, s0, 1.0, v31, 1.0
	s_delay_alu instid0(VALU_DEP_2) | instskip(SKIP_2) | instid1(VALU_DEP_1)
	v_rcp_f32_e32 v35, v33
	s_waitcnt_depctr 0xfff
	v_fma_f32 v21, -v33, v35, 1.0
	v_dual_fmac_f32 v35, v21, v35 :: v_dual_fmac_f32 v30, v10, v10
	s_delay_alu instid0(VALU_DEP_1) | instskip(NEXT) | instid1(VALU_DEP_2)
	v_mul_f32_e32 v41, v37, v35
	v_div_scale_f32 v32, null, v30, v30, 1.0
	v_div_scale_f32 v36, vcc_lo, 1.0, v30, 1.0
	s_delay_alu instid0(VALU_DEP_3) | instskip(NEXT) | instid1(VALU_DEP_3)
	v_fma_f32 v45, -v33, v41, v37
	v_rcp_f32_e32 v34, v32
	s_delay_alu instid0(VALU_DEP_1) | instskip(NEXT) | instid1(VALU_DEP_1)
	v_dual_fmac_f32 v41, v45, v35 :: v_dual_add_nc_u32 v18, 8, v0
	v_cmp_gt_i32_e64 s1, s3, v18
	s_delay_alu instid0(VALU_DEP_2) | instskip(SKIP_4) | instid1(VALU_DEP_3)
	v_fma_f32 v33, -v33, v41, v37
	s_waitcnt_depctr 0xfff
	v_fma_f32 v20, -v32, v34, 1.0
	v_cndmask_b32_e64 v18, s6, v18, s1
	v_cmp_gt_u32_e64 s1, 16, v0
	v_fmac_f32_e32 v34, v20, v34
	s_delay_alu instid0(VALU_DEP_3)
	v_lshlrev_b32_e32 v42, 3, v18
	ds_load_b64 v[26:27], v38 offset:992
	ds_load_b64 v[28:29], v8 offset:1024
	ds_load_2addr_stride64_b64 v[18:21], v43 offset0:1 offset1:2
	s_waitcnt lgkmcnt(5)
	v_mul_f32_e32 v43, v17, v7
	v_mul_f32_e64 v17, v17, -v6
	v_mul_f32_e32 v40, v36, v34
	s_waitcnt vmcnt(0) lgkmcnt(0)
	s_waitcnt_vscnt null, 0x0
	; wave barrier
	s_waitcnt lgkmcnt(0)
	buffer_gl0_inv
	v_fmac_f32_e32 v43, v6, v16
	v_fmac_f32_e32 v17, v7, v16
	v_fma_f32 v44, -v32, v40, v36
	v_mul_f32_e32 v38, v11, v4
	v_mul_f32_e64 v11, v11, -v3
	s_delay_alu instid0(VALU_DEP_3) | instskip(NEXT) | instid1(VALU_DEP_2)
	v_fmac_f32_e32 v40, v44, v34
	v_fmac_f32_e32 v11, v4, v10
	s_delay_alu instid0(VALU_DEP_2) | instskip(NEXT) | instid1(VALU_DEP_1)
	v_fma_f32 v32, -v32, v40, v36
	v_div_fmas_f32 v32, v32, v34, v40
	s_mov_b32 vcc_lo, s0
	v_div_fmas_f32 v33, v33, v35, v41
	s_delay_alu instid0(VALU_DEP_2) | instskip(NEXT) | instid1(VALU_DEP_1)
	v_div_fixup_f32 v4, v32, v30, 1.0
	v_mul_f32_e32 v6, v11, v4
	v_fmac_f32_e32 v38, v3, v10
	s_delay_alu instid0(VALU_DEP_4) | instskip(NEXT) | instid1(VALU_DEP_1)
	v_div_fixup_f32 v3, v33, v31, 1.0
	v_mul_f32_e32 v7, v3, v43
	v_mul_f32_e32 v3, v17, v3
	s_delay_alu instid0(VALU_DEP_1)
	v_mul_f32_e64 v31, v3, -v15
	v_mul_f32_e32 v34, v3, v20
	v_mul_f32_e64 v33, v3, -v21
	v_mul_f32_e32 v32, v3, v14
	v_mul_f32_e32 v35, v3, v19
	v_fmac_f32_e32 v31, v14, v7
	v_mul_f32_e32 v11, v6, v12
	v_fmac_f32_e32 v33, v20, v7
	v_mul_f32_e32 v4, v4, v38
	v_mul_f32_e64 v16, v6, -v27
	v_mul_f32_e32 v17, v6, v26
	v_mul_f32_e64 v10, v6, -v13
	s_delay_alu instid0(VALU_DEP_4) | instskip(NEXT) | instid1(VALU_DEP_4)
	v_dual_mul_f32 v30, v6, v25 :: v_dual_fmac_f32 v11, v13, v4
	v_fmac_f32_e32 v16, v26, v4
	s_delay_alu instid0(VALU_DEP_4) | instskip(NEXT) | instid1(VALU_DEP_4)
	v_dual_fmac_f32 v17, v27, v4 :: v_dual_fmac_f32 v34, v21, v7
	v_fmac_f32_e32 v10, v12, v4
	v_mul_f32_e64 v6, v6, -v24
	v_mul_f32_e64 v36, v3, -v18
	s_delay_alu instid0(VALU_DEP_4) | instskip(SKIP_2) | instid1(VALU_DEP_3)
	v_dual_sub_f32 v13, v29, v17 :: v_dual_fmac_f32 v32, v15, v7
	v_dual_sub_f32 v15, v23, v11 :: v_dual_sub_f32 v12, v28, v16
	v_sub_f32_e32 v14, v22, v10
	v_sub_f32_e32 v11, v13, v34
	v_fma_f32 v3, -v24, v4, v30
	s_delay_alu instid0(VALU_DEP_4)
	v_dual_sub_f32 v13, v15, v32 :: v_dual_sub_f32 v10, v12, v33
	v_fma_f32 v4, -v25, v4, v6
	v_sub_f32_e32 v12, v14, v31
	v_fma_f32 v6, -v18, v7, v35
	v_fma_f32 v7, -v19, v7, v36
	ds_store_b64 v8, v[10:11] offset:1024
	ds_store_b64 v8, v[3:4]
	ds_store_b64 v9, v[12:13]
	ds_store_b64 v5, v[6:7]
	s_waitcnt vmcnt(0) lgkmcnt(0)
	s_waitcnt_vscnt null, 0x0
	; wave barrier
	s_waitcnt lgkmcnt(0)
	buffer_gl0_inv
	ds_load_2addr_b64 v[10:13], v39 offset0:24 offset1:56
	ds_load_2addr_b64 v[14:17], v42 offset1:32
	ds_load_b64 v[3:4], v8
	ds_load_b64 v[6:7], v5
	s_waitcnt lgkmcnt(2)
	v_dual_mul_f32 v30, v11, v11 :: v_dual_mul_f32 v31, v17, v17
	s_delay_alu instid0(VALU_DEP_1) | instskip(NEXT) | instid1(VALU_DEP_1)
	v_dual_fmac_f32 v30, v10, v10 :: v_dual_fmac_f32 v31, v16, v16
	v_div_scale_f32 v32, null, v30, v30, 1.0
	s_delay_alu instid0(VALU_DEP_2) | instskip(SKIP_1) | instid1(VALU_DEP_3)
	v_div_scale_f32 v33, null, v31, v31, 1.0
	v_div_scale_f32 v37, s0, 1.0, v31, 1.0
	v_rcp_f32_e32 v34, v32
	s_delay_alu instid0(VALU_DEP_2) | instskip(SKIP_3) | instid1(VALU_DEP_2)
	v_rcp_f32_e32 v35, v33
	s_waitcnt_depctr 0xfff
	v_fma_f32 v18, -v32, v34, 1.0
	v_fma_f32 v19, -v33, v35, 1.0
	v_fmac_f32_e32 v34, v18, v34
	v_subrev_nc_u32_e32 v18, 64, v39
	s_delay_alu instid0(VALU_DEP_3)
	v_fmac_f32_e32 v35, v19, v35
	ds_load_b64 v[22:23], v9
	ds_load_b64 v[24:25], v18
	ds_load_b64 v[26:27], v39 offset:960
	ds_load_b64 v[28:29], v8 offset:1024
	ds_load_2addr_stride64_b64 v[18:21], v42 offset0:1 offset1:2
	s_waitcnt lgkmcnt(6)
	v_mul_f32_e32 v39, v11, v4
	v_div_scale_f32 v36, vcc_lo, 1.0, v30, 1.0
	v_mul_f32_e32 v40, v37, v35
	v_mul_f32_e64 v11, v11, -v3
	s_delay_alu instid0(VALU_DEP_4) | instskip(NEXT) | instid1(VALU_DEP_4)
	v_fmac_f32_e32 v39, v3, v10
	v_mul_f32_e32 v38, v36, v34
	s_waitcnt lgkmcnt(0)
	v_fma_f32 v43, -v33, v40, v37
	v_fmac_f32_e32 v11, v4, v10
	; wave barrier
	buffer_gl0_inv
	v_fma_f32 v41, -v32, v38, v36
	s_delay_alu instid0(VALU_DEP_1) | instskip(SKIP_2) | instid1(VALU_DEP_2)
	v_fmac_f32_e32 v38, v41, v34
	v_mul_f32_e32 v41, v17, v7
	v_mul_f32_e64 v17, v17, -v6
	v_fmac_f32_e32 v41, v6, v16
	s_delay_alu instid0(VALU_DEP_2) | instskip(SKIP_1) | instid1(VALU_DEP_1)
	v_fmac_f32_e32 v17, v7, v16
	v_fma_f32 v32, -v32, v38, v36
	v_div_fmas_f32 v32, v32, v34, v38
	s_mov_b32 vcc_lo, s0
	s_delay_alu instid0(VALU_DEP_1) | instskip(NEXT) | instid1(VALU_DEP_1)
	v_div_fixup_f32 v4, v32, v30, 1.0
	v_mul_f32_e32 v6, v11, v4
	s_delay_alu instid0(VALU_DEP_1) | instskip(NEXT) | instid1(VALU_DEP_1)
	v_dual_fmac_f32 v40, v43, v35 :: v_dual_mul_f32 v11, v6, v12
	v_fma_f32 v33, -v33, v40, v37
	s_delay_alu instid0(VALU_DEP_1) | instskip(NEXT) | instid1(VALU_DEP_1)
	v_div_fmas_f32 v33, v33, v35, v40
	v_div_fixup_f32 v3, v33, v31, 1.0
	s_delay_alu instid0(VALU_DEP_1)
	v_dual_mul_f32 v4, v4, v39 :: v_dual_mul_f32 v7, v3, v41
	v_mul_f32_e32 v3, v17, v3
	v_mul_f32_e64 v16, v6, -v27
	v_mul_f32_e32 v17, v6, v26
	v_mul_f32_e64 v10, v6, -v13
	v_fmac_f32_e32 v11, v13, v4
	v_mul_f32_e32 v34, v3, v20
	v_mul_f32_e32 v32, v3, v14
	v_mul_f32_e64 v33, v3, -v21
	v_fmac_f32_e32 v16, v26, v4
	s_delay_alu instid0(VALU_DEP_4) | instskip(SKIP_2) | instid1(VALU_DEP_3)
	v_dual_fmac_f32 v17, v27, v4 :: v_dual_fmac_f32 v34, v21, v7
	v_mul_f32_e64 v31, v3, -v15
	v_fmac_f32_e32 v10, v12, v4
	v_dual_fmac_f32 v32, v15, v7 :: v_dual_sub_f32 v13, v29, v17
	v_fmac_f32_e32 v33, v20, v7
	v_dual_sub_f32 v12, v28, v16 :: v_dual_sub_f32 v15, v23, v11
	v_dual_mul_f32 v30, v6, v25 :: v_dual_mul_f32 v35, v3, v19
	v_mul_f32_e64 v6, v6, -v24
	v_fmac_f32_e32 v31, v14, v7
	v_sub_f32_e32 v14, v22, v10
	v_mul_f32_e64 v36, v3, -v18
	v_dual_sub_f32 v10, v12, v33 :: v_dual_sub_f32 v11, v13, v34
	v_fma_f32 v3, -v24, v4, v30
	v_fma_f32 v4, -v25, v4, v6
	v_dual_sub_f32 v13, v15, v32 :: v_dual_sub_f32 v12, v14, v31
	v_fma_f32 v6, -v18, v7, v35
	v_fma_f32 v7, -v19, v7, v36
	ds_store_b64 v8, v[10:11] offset:1024
	ds_store_b64 v8, v[3:4]
	ds_store_b64 v9, v[12:13]
	;; [unrolled: 1-line block ×3, first 2 shown]
	s_waitcnt vmcnt(0) lgkmcnt(0)
	s_waitcnt_vscnt null, 0x0
	; wave barrier
	s_waitcnt lgkmcnt(0)
	buffer_gl0_inv
	s_and_saveexec_b32 s0, s1
	s_cbranch_execz .LBB54_14
; %bb.9:
	v_or_b32_e32 v6, 16, v0
	v_or_b32_e32 v7, 0x400, v8
	s_mov_b32 s1, exec_lo
                                        ; implicit-def: $vgpr4
	s_delay_alu instid0(VALU_DEP_2)
	v_cmpx_le_i32_e64 s3, v6
	s_xor_b32 s1, exec_lo, s1
	s_cbranch_execz .LBB54_11
; %bb.10:
	ds_load_b64 v[3:4], v9
	s_waitcnt lgkmcnt(0)
	v_mul_f32_e32 v9, v4, v4
	s_delay_alu instid0(VALU_DEP_1) | instskip(NEXT) | instid1(VALU_DEP_1)
	v_fmac_f32_e32 v9, v3, v3
	v_div_scale_f32 v10, null, v9, v9, 1.0
	v_div_scale_f32 v12, vcc_lo, 1.0, v9, 1.0
	s_delay_alu instid0(VALU_DEP_2) | instskip(SKIP_2) | instid1(VALU_DEP_1)
	v_rcp_f32_e32 v11, v10
	s_waitcnt_depctr 0xfff
	v_fma_f32 v5, -v10, v11, 1.0
	v_fmac_f32_e32 v11, v5, v11
	ds_load_b64 v[5:6], v7
	v_mul_f32_e32 v7, v12, v11
	s_delay_alu instid0(VALU_DEP_1) | instskip(NEXT) | instid1(VALU_DEP_1)
	v_fma_f32 v13, -v10, v7, v12
	v_fmac_f32_e32 v7, v13, v11
	s_delay_alu instid0(VALU_DEP_1) | instskip(SKIP_3) | instid1(VALU_DEP_3)
	v_fma_f32 v10, -v10, v7, v12
	s_waitcnt lgkmcnt(0)
	v_mul_f32_e32 v12, v4, v6
	v_mul_f32_e64 v4, v4, -v5
	v_div_fmas_f32 v7, v10, v11, v7
	s_delay_alu instid0(VALU_DEP_3) | instskip(NEXT) | instid1(VALU_DEP_2)
	v_fmac_f32_e32 v12, v5, v3
	v_div_fixup_f32 v5, v7, v9, 1.0
	s_delay_alu instid0(VALU_DEP_4) | instskip(NEXT) | instid1(VALU_DEP_1)
	v_fmac_f32_e32 v4, v6, v3
                                        ; implicit-def: $vgpr9
                                        ; implicit-def: $vgpr7
                                        ; implicit-def: $vgpr6
	v_dual_mul_f32 v3, v5, v12 :: v_dual_mul_f32 v4, v4, v5
                                        ; implicit-def: $vgpr5
.LBB54_11:
	s_and_not1_saveexec_b32 s1, s1
	s_cbranch_execz .LBB54_13
; %bb.12:
	ds_load_2addr_b64 v[9:12], v9 offset1:16
	ds_load_b64 v[3:4], v5
	ds_load_b64 v[17:18], v8 offset:128
	s_waitcnt lgkmcnt(2)
	v_mul_f32_e64 v13, v10, -v12
	s_waitcnt lgkmcnt(0)
	v_mul_f32_e32 v5, v18, v3
	v_mul_f32_e32 v0, v10, v11
	v_mul_f32_e64 v14, v18, -v4
	v_fmac_f32_e32 v13, v11, v9
	s_delay_alu instid0(VALU_DEP_4) | instskip(NEXT) | instid1(VALU_DEP_4)
	v_fmac_f32_e32 v5, v4, v17
	v_fmac_f32_e32 v0, v12, v9
	s_delay_alu instid0(VALU_DEP_1) | instskip(NEXT) | instid1(VALU_DEP_1)
	v_sub_f32_e32 v0, v0, v5
	v_dual_fmac_f32 v14, v3, v17 :: v_dual_mul_f32 v19, v0, v0
	s_delay_alu instid0(VALU_DEP_1)
	v_sub_f32_e32 v5, v13, v14
	ds_load_2addr_b64 v[13:16], v7 offset1:16
	s_waitcnt lgkmcnt(0)
	v_mul_f32_e64 v26, v16, -v4
	v_fmac_f32_e32 v19, v5, v5
	v_mul_f32_e32 v27, v16, v3
	v_mul_f32_e64 v28, v10, -v16
	v_mul_f32_e64 v23, v14, -v12
	v_fmac_f32_e32 v26, v3, v15
	v_div_scale_f32 v20, null, v19, v19, 1.0
	v_div_scale_f32 v22, vcc_lo, 1.0, v19, 1.0
	v_fmac_f32_e32 v27, v4, v15
	s_delay_alu instid0(VALU_DEP_3)
	v_rcp_f32_e32 v21, v20
	v_fma_f32 v4, v5, 0, -v0
	v_dual_mul_f32 v25, v14, v11 :: v_dual_fmac_f32 v28, v15, v9
	v_fma_f32 v0, 0, v0, v5
	v_dual_fmac_f32 v23, v11, v13 :: v_dual_mul_f32 v10, v10, v15
	s_waitcnt_depctr 0xfff
	v_fma_f32 v7, -v20, v21, 1.0
	v_sub_f32_e32 v5, v23, v26
	s_delay_alu instid0(VALU_DEP_2) | instskip(NEXT) | instid1(VALU_DEP_1)
	v_fmac_f32_e32 v21, v7, v21
	v_mul_f32_e32 v7, v22, v21
	s_delay_alu instid0(VALU_DEP_1) | instskip(NEXT) | instid1(VALU_DEP_1)
	v_fma_f32 v24, -v20, v7, v22
	v_fmac_f32_e32 v7, v24, v21
	v_mul_f32_e64 v24, v18, -v14
	v_mul_f32_e32 v18, v18, v13
	s_delay_alu instid0(VALU_DEP_3) | instskip(NEXT) | instid1(VALU_DEP_3)
	v_fma_f32 v11, -v20, v7, v22
	v_fmac_f32_e32 v24, v13, v17
	v_fmac_f32_e32 v10, v16, v9
	s_delay_alu instid0(VALU_DEP_3) | instskip(NEXT) | instid1(VALU_DEP_1)
	v_div_fmas_f32 v3, v11, v21, v7
	v_div_fixup_f32 v3, v3, v19, 1.0
	s_delay_alu instid0(VALU_DEP_1) | instskip(SKIP_2) | instid1(VALU_DEP_1)
	v_mul_f32_e32 v4, v4, v3
	v_mul_f32_e32 v0, v0, v3
	v_fmac_f32_e32 v18, v14, v17
	v_dual_sub_f32 v11, v10, v18 :: v_dual_mul_f32 v10, v5, v4
	v_fmac_f32_e32 v25, v12, v13
	v_sub_f32_e32 v12, v28, v24
	s_delay_alu instid0(VALU_DEP_3) | instskip(NEXT) | instid1(VALU_DEP_3)
	v_mul_f32_e64 v3, v4, -v11
	v_sub_f32_e32 v7, v25, v27
	s_delay_alu instid0(VALU_DEP_2) | instskip(NEXT) | instid1(VALU_DEP_2)
	v_fmac_f32_e32 v3, v12, v0
	v_mul_f32_e64 v9, v4, -v7
	v_mul_f32_e32 v4, v4, v12
	v_fmac_f32_e32 v10, v7, v0
	s_delay_alu instid0(VALU_DEP_3) | instskip(NEXT) | instid1(VALU_DEP_3)
	v_fmac_f32_e32 v9, v5, v0
	v_fmac_f32_e32 v4, v11, v0
	v_mov_b32_e32 v0, v6
	ds_store_b64 v8, v[9:10] offset:768
.LBB54_13:
	s_or_b32 exec_lo, exec_lo, s1
	v_lshlrev_b32_e32 v0, 3, v0
	ds_store_b64 v0, v[3:4] offset:768
.LBB54_14:
	s_or_b32 exec_lo, exec_lo, s0
	s_waitcnt vmcnt(0) lgkmcnt(0)
	s_waitcnt_vscnt null, 0x0
	; wave barrier
	s_waitcnt lgkmcnt(0)
	buffer_gl0_inv
	s_and_saveexec_b32 s0, s2
	s_cbranch_execz .LBB54_16
; %bb.15:
	ds_load_b64 v[3:4], v8 offset:768
	v_lshlrev_b64 v[0:1], 3, v[1:2]
	s_delay_alu instid0(VALU_DEP_1) | instskip(NEXT) | instid1(VALU_DEP_2)
	v_add_co_u32 v0, vcc_lo, s4, v0
	v_add_co_ci_u32_e32 v1, vcc_lo, s5, v1, vcc_lo
	s_waitcnt lgkmcnt(0)
	global_store_b64 v[0:1], v[3:4], off
.LBB54_16:
	s_nop 0
	s_sendmsg sendmsg(MSG_DEALLOC_VGPRS)
	s_endpgm
	.section	.rodata,"a",@progbits
	.p2align	6, 0x0
	.amdhsa_kernel _ZN9rocsparseL44gtsv_nopivot_strided_batch_pcr_shared_kernelILj32E21rocsparse_complex_numIfEEEviiiPKT0_S5_S5_PS3_
		.amdhsa_group_segment_fixed_size 1280
		.amdhsa_private_segment_fixed_size 0
		.amdhsa_kernarg_size 48
		.amdhsa_user_sgpr_count 15
		.amdhsa_user_sgpr_dispatch_ptr 0
		.amdhsa_user_sgpr_queue_ptr 0
		.amdhsa_user_sgpr_kernarg_segment_ptr 1
		.amdhsa_user_sgpr_dispatch_id 0
		.amdhsa_user_sgpr_private_segment_size 0
		.amdhsa_wavefront_size32 1
		.amdhsa_uses_dynamic_stack 0
		.amdhsa_enable_private_segment 0
		.amdhsa_system_sgpr_workgroup_id_x 1
		.amdhsa_system_sgpr_workgroup_id_y 0
		.amdhsa_system_sgpr_workgroup_id_z 0
		.amdhsa_system_sgpr_workgroup_info 0
		.amdhsa_system_vgpr_workitem_id 0
		.amdhsa_next_free_vgpr 46
		.amdhsa_next_free_sgpr 16
		.amdhsa_reserve_vcc 1
		.amdhsa_float_round_mode_32 0
		.amdhsa_float_round_mode_16_64 0
		.amdhsa_float_denorm_mode_32 3
		.amdhsa_float_denorm_mode_16_64 3
		.amdhsa_dx10_clamp 1
		.amdhsa_ieee_mode 1
		.amdhsa_fp16_overflow 0
		.amdhsa_workgroup_processor_mode 1
		.amdhsa_memory_ordered 1
		.amdhsa_forward_progress 0
		.amdhsa_shared_vgpr_count 0
		.amdhsa_exception_fp_ieee_invalid_op 0
		.amdhsa_exception_fp_denorm_src 0
		.amdhsa_exception_fp_ieee_div_zero 0
		.amdhsa_exception_fp_ieee_overflow 0
		.amdhsa_exception_fp_ieee_underflow 0
		.amdhsa_exception_fp_ieee_inexact 0
		.amdhsa_exception_int_div_zero 0
	.end_amdhsa_kernel
	.section	.text._ZN9rocsparseL44gtsv_nopivot_strided_batch_pcr_shared_kernelILj32E21rocsparse_complex_numIfEEEviiiPKT0_S5_S5_PS3_,"axG",@progbits,_ZN9rocsparseL44gtsv_nopivot_strided_batch_pcr_shared_kernelILj32E21rocsparse_complex_numIfEEEviiiPKT0_S5_S5_PS3_,comdat
.Lfunc_end54:
	.size	_ZN9rocsparseL44gtsv_nopivot_strided_batch_pcr_shared_kernelILj32E21rocsparse_complex_numIfEEEviiiPKT0_S5_S5_PS3_, .Lfunc_end54-_ZN9rocsparseL44gtsv_nopivot_strided_batch_pcr_shared_kernelILj32E21rocsparse_complex_numIfEEEviiiPKT0_S5_S5_PS3_
                                        ; -- End function
	.section	.AMDGPU.csdata,"",@progbits
; Kernel info:
; codeLenInByte = 3672
; NumSgprs: 18
; NumVgprs: 46
; ScratchSize: 0
; MemoryBound: 0
; FloatMode: 240
; IeeeMode: 1
; LDSByteSize: 1280 bytes/workgroup (compile time only)
; SGPRBlocks: 2
; VGPRBlocks: 5
; NumSGPRsForWavesPerEU: 18
; NumVGPRsForWavesPerEU: 46
; Occupancy: 16
; WaveLimiterHint : 0
; COMPUTE_PGM_RSRC2:SCRATCH_EN: 0
; COMPUTE_PGM_RSRC2:USER_SGPR: 15
; COMPUTE_PGM_RSRC2:TRAP_HANDLER: 0
; COMPUTE_PGM_RSRC2:TGID_X_EN: 1
; COMPUTE_PGM_RSRC2:TGID_Y_EN: 0
; COMPUTE_PGM_RSRC2:TGID_Z_EN: 0
; COMPUTE_PGM_RSRC2:TIDIG_COMP_CNT: 0
	.section	.text._ZN9rocsparseL44gtsv_nopivot_strided_batch_pcr_shared_kernelILj64E21rocsparse_complex_numIfEEEviiiPKT0_S5_S5_PS3_,"axG",@progbits,_ZN9rocsparseL44gtsv_nopivot_strided_batch_pcr_shared_kernelILj64E21rocsparse_complex_numIfEEEviiiPKT0_S5_S5_PS3_,comdat
	.globl	_ZN9rocsparseL44gtsv_nopivot_strided_batch_pcr_shared_kernelILj64E21rocsparse_complex_numIfEEEviiiPKT0_S5_S5_PS3_ ; -- Begin function _ZN9rocsparseL44gtsv_nopivot_strided_batch_pcr_shared_kernelILj64E21rocsparse_complex_numIfEEEviiiPKT0_S5_S5_PS3_
	.p2align	8
	.type	_ZN9rocsparseL44gtsv_nopivot_strided_batch_pcr_shared_kernelILj64E21rocsparse_complex_numIfEEEviiiPKT0_S5_S5_PS3_,@function
_ZN9rocsparseL44gtsv_nopivot_strided_batch_pcr_shared_kernelILj64E21rocsparse_complex_numIfEEEviiiPKT0_S5_S5_PS3_: ; @_ZN9rocsparseL44gtsv_nopivot_strided_batch_pcr_shared_kernelILj64E21rocsparse_complex_numIfEEEviiiPKT0_S5_S5_PS3_
; %bb.0:
	s_clause 0x1
	s_load_b32 s2, s[0:1], 0x8
	s_load_b32 s3, s[0:1], 0x0
	v_dual_mov_b32 v4, 0 :: v_dual_mov_b32 v7, 0
	v_mov_b32_e32 v6, 0
	s_waitcnt lgkmcnt(0)
	v_mad_u64_u32 v[1:2], null, s15, s2, v[0:1]
	v_cmp_gt_i32_e64 s2, s3, v0
	s_delay_alu instid0(VALU_DEP_2) | instskip(NEXT) | instid1(VALU_DEP_2)
	v_ashrrev_i32_e32 v2, 31, v1
	s_and_saveexec_b32 s4, s2
	s_cbranch_execz .LBB55_2
; %bb.1:
	s_load_b64 s[6:7], s[0:1], 0x10
	s_delay_alu instid0(VALU_DEP_1) | instskip(SKIP_1) | instid1(VALU_DEP_1)
	v_lshlrev_b64 v[5:6], 3, v[1:2]
	s_waitcnt lgkmcnt(0)
	v_add_co_u32 v5, vcc_lo, s6, v5
	s_delay_alu instid0(VALU_DEP_2)
	v_add_co_ci_u32_e32 v6, vcc_lo, s7, v6, vcc_lo
	global_load_b64 v[6:7], v[5:6], off
.LBB55_2:
	s_or_b32 exec_lo, exec_lo, s4
	v_dual_mov_b32 v5, 0 :: v_dual_lshlrev_b32 v8, 3, v0
	s_waitcnt vmcnt(0)
	ds_store_b64 v8, v[6:7]
	s_and_saveexec_b32 s4, s2
	s_cbranch_execz .LBB55_4
; %bb.3:
	s_load_b64 s[6:7], s[0:1], 0x18
	v_lshlrev_b64 v[3:4], 3, v[1:2]
	s_waitcnt lgkmcnt(0)
	s_delay_alu instid0(VALU_DEP_1) | instskip(NEXT) | instid1(VALU_DEP_2)
	v_add_co_u32 v3, vcc_lo, s6, v3
	v_add_co_ci_u32_e32 v4, vcc_lo, s7, v4, vcc_lo
	global_load_b64 v[4:5], v[3:4], off
.LBB55_4:
	s_or_b32 exec_lo, exec_lo, s4
	s_load_b64 s[4:5], s[0:1], 0x28
	v_dual_mov_b32 v3, 0 :: v_dual_mov_b32 v6, 0
	v_mov_b32_e32 v7, 0
	s_waitcnt vmcnt(0)
	ds_store_b64 v8, v[4:5] offset:512
	s_and_saveexec_b32 s6, s2
	s_cbranch_execz .LBB55_6
; %bb.5:
	s_load_b64 s[0:1], s[0:1], 0x20
	v_lshlrev_b64 v[4:5], 3, v[1:2]
	s_waitcnt lgkmcnt(0)
	s_delay_alu instid0(VALU_DEP_1) | instskip(NEXT) | instid1(VALU_DEP_2)
	v_add_co_u32 v4, vcc_lo, s0, v4
	v_add_co_ci_u32_e32 v5, vcc_lo, s1, v5, vcc_lo
	global_load_b64 v[6:7], v[4:5], off
.LBB55_6:
	s_or_b32 exec_lo, exec_lo, s6
	v_or_b32_e32 v9, 0x200, v8
	v_or_b32_e32 v5, 0x400, v8
	v_mov_b32_e32 v4, 0
	s_waitcnt vmcnt(0)
	ds_store_b64 v8, v[6:7] offset:1024
	s_and_saveexec_b32 s0, s2
	s_cbranch_execz .LBB55_8
; %bb.7:
	v_lshlrev_b64 v[3:4], 3, v[1:2]
	s_waitcnt lgkmcnt(0)
	s_delay_alu instid0(VALU_DEP_1) | instskip(NEXT) | instid1(VALU_DEP_2)
	v_add_co_u32 v3, vcc_lo, s4, v3
	v_add_co_ci_u32_e32 v4, vcc_lo, s5, v4, vcc_lo
	global_load_b64 v[3:4], v[3:4], off
.LBB55_8:
	s_or_b32 exec_lo, exec_lo, s0
	v_add_nc_u32_e32 v6, 1, v0
	s_add_i32 s1, s3, -1
	v_max_u32_e32 v7, 1, v0
	s_waitcnt vmcnt(0)
	ds_store_b64 v8, v[3:4] offset:2048
	s_waitcnt lgkmcnt(0)
	v_cmp_gt_i32_e32 vcc_lo, s3, v6
	s_barrier
	v_lshlrev_b32_e32 v18, 3, v7
	buffer_gl0_inv
	v_max_u32_e32 v21, 2, v0
	s_delay_alu instid0(VALU_DEP_1) | instskip(NEXT) | instid1(VALU_DEP_1)
	v_dual_cndmask_b32 v6, s1, v6 :: v_dual_lshlrev_b32 v39, 3, v21
	v_lshlrev_b32_e32 v19, 3, v6
	ds_load_2addr_b64 v[10:13], v18 offset0:63 offset1:127
	ds_load_2addr_stride64_b64 v[14:17], v19 offset1:1
	ds_load_b64 v[3:4], v8
	ds_load_b64 v[6:7], v5
	;; [unrolled: 1-line block ×3, first 2 shown]
	s_waitcnt lgkmcnt(3)
	v_dual_mul_f32 v30, v11, v11 :: v_dual_mul_f32 v31, v17, v17
	s_waitcnt lgkmcnt(2)
	v_mul_f32_e64 v44, v11, -v3
	v_mul_f32_e32 v11, v11, v4
	s_delay_alu instid0(VALU_DEP_3) | instskip(NEXT) | instid1(VALU_DEP_3)
	v_fmac_f32_e32 v31, v16, v16
	v_fmac_f32_e32 v44, v4, v10
	s_delay_alu instid0(VALU_DEP_3) | instskip(NEXT) | instid1(VALU_DEP_3)
	v_fmac_f32_e32 v11, v3, v10
	v_div_scale_f32 v33, null, v31, v31, 1.0
	v_div_scale_f32 v37, s0, 1.0, v31, 1.0
	s_delay_alu instid0(VALU_DEP_2) | instskip(SKIP_2) | instid1(VALU_DEP_1)
	v_rcp_f32_e32 v35, v33
	s_waitcnt_depctr 0xfff
	v_fma_f32 v25, -v33, v35, 1.0
	v_dual_fmac_f32 v30, v10, v10 :: v_dual_fmac_f32 v35, v25, v35
	s_delay_alu instid0(VALU_DEP_1) | instskip(NEXT) | instid1(VALU_DEP_2)
	v_div_scale_f32 v32, null, v30, v30, 1.0
	v_dual_mul_f32 v41, v37, v35 :: v_dual_add_nc_u32 v20, 2, v0
	s_delay_alu instid0(VALU_DEP_2) | instskip(NEXT) | instid1(VALU_DEP_1)
	v_rcp_f32_e32 v34, v32
	v_cmp_gt_i32_e32 vcc_lo, s3, v20
	s_delay_alu instid0(VALU_DEP_2)
	v_fma_f32 v43, -v33, v41, v37
	v_cndmask_b32_e32 v20, s1, v20, vcc_lo
	v_div_scale_f32 v36, vcc_lo, 1.0, v30, 1.0
	s_waitcnt_depctr 0xfff
	v_fma_f32 v24, -v32, v34, 1.0
	v_dual_fmac_f32 v41, v43, v35 :: v_dual_lshlrev_b32 v40, 3, v20
	s_delay_alu instid0(VALU_DEP_2) | instskip(NEXT) | instid1(VALU_DEP_2)
	v_fmac_f32_e32 v34, v24, v34
	v_fma_f32 v33, -v33, v41, v37
	s_delay_alu instid0(VALU_DEP_2) | instskip(NEXT) | instid1(VALU_DEP_1)
	v_mul_f32_e32 v38, v36, v34
	v_fma_f32 v42, -v32, v38, v36
	s_delay_alu instid0(VALU_DEP_1) | instskip(NEXT) | instid1(VALU_DEP_1)
	v_fmac_f32_e32 v38, v42, v34
	v_fma_f32 v4, -v32, v38, v36
	s_waitcnt lgkmcnt(1)
	v_mul_f32_e32 v32, v17, v7
	v_mul_f32_e64 v17, v17, -v6
	v_add_nc_u32_e32 v24, -8, v18
	v_div_fmas_f32 v4, v4, v34, v38
	s_mov_b32 vcc_lo, s0
	s_delay_alu instid0(VALU_DEP_3)
	v_fmac_f32_e32 v17, v7, v16
	ds_load_b64 v[24:25], v24
	ds_load_b64 v[26:27], v18 offset:2040
	ds_load_b64 v[28:29], v8 offset:2048
	ds_load_2addr_stride64_b64 v[18:21], v19 offset0:2 offset1:4
	v_div_fmas_f32 v33, v33, v35, v41
	v_div_fixup_f32 v4, v4, v30, 1.0
	v_fmac_f32_e32 v32, v6, v16
	s_waitcnt lgkmcnt(0)
	s_barrier
	v_div_fixup_f32 v3, v33, v31, 1.0
	v_mul_f32_e32 v6, v44, v4
	buffer_gl0_inv
	v_mul_f32_e32 v10, v17, v3
	v_mul_f32_e32 v4, v4, v11
	v_mul_f32_e64 v11, v6, -v13
	v_mul_f32_e32 v30, v6, v26
	v_mul_f32_e64 v17, v6, -v27
	s_delay_alu instid0(VALU_DEP_2) | instskip(SKIP_2) | instid1(VALU_DEP_4)
	v_fmac_f32_e32 v30, v27, v4
	v_mul_f32_e32 v27, v10, v20
	v_fmac_f32_e32 v11, v12, v4
	v_fmac_f32_e32 v17, v26, v4
	v_mul_f32_e64 v26, v10, -v21
	s_delay_alu instid0(VALU_DEP_3) | instskip(SKIP_1) | instid1(VALU_DEP_1)
	v_dual_sub_f32 v22, v22, v11 :: v_dual_sub_f32 v11, v29, v30
	v_mul_f32_e32 v7, v3, v32
	v_dual_fmac_f32 v27, v21, v7 :: v_dual_mul_f32 v16, v6, v12
	v_mul_f32_e32 v3, v6, v25
	v_mul_f32_e64 v6, v6, -v24
	v_mul_f32_e64 v12, v10, -v15
	v_fmac_f32_e32 v26, v20, v7
	v_dual_fmac_f32 v16, v13, v4 :: v_dual_mul_f32 v13, v10, v14
	v_fma_f32 v3, -v24, v4, v3
	v_fma_f32 v4, -v25, v4, v6
	v_mul_f32_e32 v6, v10, v19
	v_mul_f32_e64 v24, v10, -v18
	v_sub_f32_e32 v10, v28, v17
	v_sub_f32_e32 v16, v23, v16
	v_fmac_f32_e32 v12, v14, v7
	v_fmac_f32_e32 v13, v15, v7
	s_delay_alu instid0(VALU_DEP_4) | instskip(SKIP_1) | instid1(VALU_DEP_3)
	v_dual_sub_f32 v11, v11, v27 :: v_dual_sub_f32 v10, v10, v26
	v_fma_f32 v6, -v18, v7, v6
	v_dual_sub_f32 v12, v22, v12 :: v_dual_sub_f32 v13, v16, v13
	v_fma_f32 v7, -v19, v7, v24
	ds_store_b64 v8, v[10:11] offset:2048
	ds_store_b64 v8, v[3:4]
	ds_store_b64 v9, v[12:13]
	ds_store_b64 v5, v[6:7]
	s_waitcnt lgkmcnt(0)
	s_barrier
	buffer_gl0_inv
	ds_load_2addr_b64 v[10:13], v39 offset0:62 offset1:126
	ds_load_2addr_stride64_b64 v[14:17], v40 offset1:1
	v_add_nc_u32_e32 v3, 4, v0
	v_max_u32_e32 v4, 4, v0
	ds_load_b64 v[22:23], v9
	v_cmp_gt_i32_e32 vcc_lo, s3, v3
	s_waitcnt lgkmcnt(1)
	v_dual_cndmask_b32 v18, s1, v3 :: v_dual_mul_f32 v31, v17, v17
	s_delay_alu instid0(VALU_DEP_1) | instskip(NEXT) | instid1(VALU_DEP_1)
	v_fmac_f32_e32 v31, v16, v16
	v_div_scale_f32 v33, null, v31, v31, 1.0
	v_div_scale_f32 v38, s0, 1.0, v31, 1.0
	s_delay_alu instid0(VALU_DEP_2) | instskip(SKIP_2) | instid1(VALU_DEP_1)
	v_rcp_f32_e32 v35, v33
	s_waitcnt_depctr 0xfff
	v_fma_f32 v19, -v33, v35, 1.0
	v_fmac_f32_e32 v35, v19, v35
	v_add_nc_u32_e32 v19, -16, v39
	v_lshlrev_b32_e32 v36, 3, v4
	ds_load_b64 v[3:4], v8
	v_mul_f32_e32 v43, v38, v35
	ds_load_b64 v[24:25], v19
	v_mul_f32_e32 v30, v11, v11
	s_delay_alu instid0(VALU_DEP_1) | instskip(NEXT) | instid1(VALU_DEP_1)
	v_fmac_f32_e32 v30, v10, v10
	v_div_scale_f32 v32, null, v30, v30, 1.0
	s_delay_alu instid0(VALU_DEP_1) | instskip(SKIP_2) | instid1(VALU_DEP_1)
	v_rcp_f32_e32 v34, v32
	s_waitcnt_depctr 0xfff
	v_fma_f32 v6, -v32, v34, 1.0
	v_fmac_f32_e32 v34, v6, v34
	ds_load_b64 v[6:7], v5
	ds_load_b64 v[26:27], v39 offset:2032
	ds_load_b64 v[28:29], v8 offset:2048
	v_fma_f32 v39, -v33, v43, v38
	s_delay_alu instid0(VALU_DEP_1) | instskip(NEXT) | instid1(VALU_DEP_1)
	v_fmac_f32_e32 v43, v39, v35
	v_fma_f32 v33, -v33, v43, v38
	s_waitcnt lgkmcnt(2)
	v_mul_f32_e32 v39, v17, v7
	v_mul_f32_e64 v17, v17, -v6
	s_delay_alu instid0(VALU_DEP_2) | instskip(NEXT) | instid1(VALU_DEP_2)
	v_fmac_f32_e32 v39, v6, v16
	v_fmac_f32_e32 v17, v7, v16
	v_div_scale_f32 v37, vcc_lo, 1.0, v30, 1.0
	v_lshlrev_b32_e32 v42, 3, v18
	ds_load_2addr_stride64_b64 v[18:21], v40 offset0:2 offset1:4
	v_dual_mul_f32 v40, v11, v4 :: v_dual_mul_f32 v41, v37, v34
	v_mul_f32_e64 v11, v11, -v3
	s_waitcnt lgkmcnt(0)
	s_barrier
	buffer_gl0_inv
	v_fma_f32 v44, -v32, v41, v37
	v_fmac_f32_e32 v11, v4, v10
	s_delay_alu instid0(VALU_DEP_2) | instskip(NEXT) | instid1(VALU_DEP_1)
	v_fmac_f32_e32 v41, v44, v34
	v_fma_f32 v32, -v32, v41, v37
	s_delay_alu instid0(VALU_DEP_1) | instskip(SKIP_2) | instid1(VALU_DEP_2)
	v_div_fmas_f32 v32, v32, v34, v41
	s_mov_b32 vcc_lo, s0
	v_div_fmas_f32 v33, v33, v35, v43
	v_div_fixup_f32 v4, v32, v30, 1.0
	s_delay_alu instid0(VALU_DEP_1) | instskip(SKIP_1) | instid1(VALU_DEP_4)
	v_mul_f32_e32 v6, v11, v4
	v_fmac_f32_e32 v40, v3, v10
	v_div_fixup_f32 v3, v33, v31, 1.0
	s_delay_alu instid0(VALU_DEP_1) | instskip(SKIP_1) | instid1(VALU_DEP_1)
	v_mul_f32_e32 v7, v3, v39
	v_mul_f32_e32 v3, v17, v3
	v_mul_f32_e64 v31, v3, -v15
	v_mul_f32_e32 v35, v3, v19
	v_mul_f32_e64 v33, v3, -v21
	;; [unrolled: 2-line block ×3, first 2 shown]
	v_fmac_f32_e32 v31, v14, v7
	v_mul_f32_e32 v11, v6, v12
	v_fmac_f32_e32 v33, v20, v7
	v_dual_mul_f32 v4, v4, v40 :: v_dual_mul_f32 v17, v6, v26
	v_mul_f32_e64 v16, v6, -v27
	v_mul_f32_e64 v10, v6, -v13
	s_delay_alu instid0(VALU_DEP_3) | instskip(NEXT) | instid1(VALU_DEP_4)
	v_dual_mul_f32 v30, v6, v25 :: v_dual_fmac_f32 v11, v13, v4
	v_fmac_f32_e32 v17, v27, v4
	v_mul_f32_e32 v34, v3, v20
	s_delay_alu instid0(VALU_DEP_4)
	v_fmac_f32_e32 v10, v12, v4
	v_fmac_f32_e32 v32, v15, v7
	v_sub_f32_e32 v15, v23, v11
	v_sub_f32_e32 v13, v29, v17
	v_fmac_f32_e32 v34, v21, v7
	v_fmac_f32_e32 v16, v26, v4
	v_mul_f32_e64 v6, v6, -v24
	v_sub_f32_e32 v14, v22, v10
	v_fma_f32 v3, -v24, v4, v30
	v_sub_f32_e32 v11, v13, v34
	v_sub_f32_e32 v13, v15, v32
	;; [unrolled: 1-line block ×3, first 2 shown]
	v_fma_f32 v4, -v25, v4, v6
	v_fma_f32 v6, -v18, v7, v35
	v_fma_f32 v7, -v19, v7, v37
	s_delay_alu instid0(VALU_DEP_4)
	v_sub_f32_e32 v10, v12, v33
	v_sub_f32_e32 v12, v14, v31
	ds_store_b64 v8, v[10:11] offset:2048
	ds_store_b64 v8, v[3:4]
	ds_store_b64 v9, v[12:13]
	;; [unrolled: 1-line block ×3, first 2 shown]
	s_waitcnt lgkmcnt(0)
	s_barrier
	buffer_gl0_inv
	ds_load_2addr_b64 v[10:13], v36 offset0:60 offset1:124
	ds_load_2addr_stride64_b64 v[14:17], v42 offset1:1
	v_max_u32_e32 v4, 8, v0
	v_add_nc_u32_e32 v3, 8, v0
	ds_load_b64 v[22:23], v9
	v_lshlrev_b32_e32 v37, 3, v4
	v_cmp_gt_i32_e32 vcc_lo, s3, v3
	v_cndmask_b32_e32 v18, s1, v3, vcc_lo
	ds_load_b64 v[3:4], v8
	s_waitcnt lgkmcnt(2)
	v_dual_mul_f32 v30, v11, v11 :: v_dual_mul_f32 v31, v17, v17
	s_delay_alu instid0(VALU_DEP_1) | instskip(NEXT) | instid1(VALU_DEP_1)
	v_fmac_f32_e32 v31, v16, v16
	v_div_scale_f32 v33, null, v31, v31, 1.0
	v_div_scale_f32 v39, s0, 1.0, v31, 1.0
	s_delay_alu instid0(VALU_DEP_2) | instskip(SKIP_2) | instid1(VALU_DEP_1)
	v_rcp_f32_e32 v35, v33
	s_waitcnt_depctr 0xfff
	v_fma_f32 v19, -v33, v35, 1.0
	v_dual_fmac_f32 v35, v19, v35 :: v_dual_fmac_f32 v30, v10, v10
	v_subrev_nc_u32_e32 v19, 32, v36
	s_delay_alu instid0(VALU_DEP_2) | instskip(NEXT) | instid1(VALU_DEP_3)
	v_mul_f32_e32 v43, v39, v35
	v_div_scale_f32 v32, null, v30, v30, 1.0
	ds_load_b64 v[24:25], v19
	v_div_scale_f32 v38, vcc_lo, 1.0, v30, 1.0
	v_rcp_f32_e32 v34, v32
	s_waitcnt_depctr 0xfff
	v_fma_f32 v6, -v32, v34, 1.0
	s_delay_alu instid0(VALU_DEP_1)
	v_fmac_f32_e32 v34, v6, v34
	ds_load_b64 v[6:7], v5
	ds_load_b64 v[26:27], v36 offset:2016
	ds_load_b64 v[28:29], v8 offset:2048
	v_fma_f32 v36, -v33, v43, v39
	v_lshlrev_b32_e32 v41, 3, v18
	ds_load_2addr_stride64_b64 v[18:21], v42 offset0:2 offset1:4
	s_waitcnt lgkmcnt(5)
	v_mul_f32_e32 v42, v11, v4
	v_mul_f32_e64 v11, v11, -v3
	v_fmac_f32_e32 v43, v36, v35
	s_waitcnt lgkmcnt(0)
	s_barrier
	buffer_gl0_inv
	v_fmac_f32_e32 v11, v4, v10
	v_fma_f32 v33, -v33, v43, v39
	v_mul_f32_e32 v36, v17, v7
	v_mul_f32_e64 v17, v17, -v6
	v_mul_f32_e32 v40, v38, v34
	s_delay_alu instid0(VALU_DEP_3) | instskip(NEXT) | instid1(VALU_DEP_3)
	v_fmac_f32_e32 v36, v6, v16
	v_fmac_f32_e32 v17, v7, v16
	s_delay_alu instid0(VALU_DEP_3) | instskip(SKIP_1) | instid1(VALU_DEP_2)
	v_fma_f32 v44, -v32, v40, v38
	v_fmac_f32_e32 v42, v3, v10
	v_fmac_f32_e32 v40, v44, v34
	s_delay_alu instid0(VALU_DEP_1) | instskip(NEXT) | instid1(VALU_DEP_1)
	v_fma_f32 v32, -v32, v40, v38
	v_div_fmas_f32 v32, v32, v34, v40
	s_mov_b32 vcc_lo, s0
	v_div_fmas_f32 v33, v33, v35, v43
	s_delay_alu instid0(VALU_DEP_2) | instskip(NEXT) | instid1(VALU_DEP_2)
	v_div_fixup_f32 v4, v32, v30, 1.0
	v_div_fixup_f32 v3, v33, v31, 1.0
	s_delay_alu instid0(VALU_DEP_1) | instskip(SKIP_1) | instid1(VALU_DEP_1)
	v_mul_f32_e32 v7, v3, v36
	v_mul_f32_e32 v3, v17, v3
	v_mul_f32_e64 v31, v3, -v15
	v_mul_f32_e32 v6, v11, v4
	v_mul_f32_e32 v4, v4, v42
	;; [unrolled: 1-line block ×3, first 2 shown]
	v_mul_f32_e64 v33, v3, -v21
	v_fmac_f32_e32 v31, v14, v7
	v_mul_f32_e32 v17, v6, v26
	v_mul_f32_e32 v11, v6, v12
	v_mul_f32_e64 v16, v6, -v27
	v_mul_f32_e64 v10, v6, -v13
	s_delay_alu instid0(VALU_DEP_4) | instskip(SKIP_3) | instid1(VALU_DEP_4)
	v_dual_mul_f32 v30, v6, v25 :: v_dual_fmac_f32 v17, v27, v4
	v_fmac_f32_e32 v34, v21, v7
	v_dual_mul_f32 v32, v3, v14 :: v_dual_fmac_f32 v33, v20, v7
	v_fmac_f32_e32 v11, v13, v4
	v_dual_sub_f32 v13, v29, v17 :: v_dual_fmac_f32 v16, v26, v4
	v_fmac_f32_e32 v10, v12, v4
	s_delay_alu instid0(VALU_DEP_4) | instskip(NEXT) | instid1(VALU_DEP_4)
	v_fmac_f32_e32 v32, v15, v7
	v_sub_f32_e32 v15, v23, v11
	s_delay_alu instid0(VALU_DEP_4) | instskip(SKIP_1) | instid1(VALU_DEP_3)
	v_dual_sub_f32 v11, v13, v34 :: v_dual_sub_f32 v12, v28, v16
	v_mul_f32_e64 v6, v6, -v24
	v_dual_sub_f32 v14, v22, v10 :: v_dual_sub_f32 v13, v15, v32
	v_mul_f32_e32 v35, v3, v19
	v_mul_f32_e64 v36, v3, -v18
	v_sub_f32_e32 v10, v12, v33
	v_fma_f32 v3, -v24, v4, v30
	v_fma_f32 v4, -v25, v4, v6
	v_sub_f32_e32 v12, v14, v31
	v_fma_f32 v6, -v18, v7, v35
	v_fma_f32 v7, -v19, v7, v36
	ds_store_b64 v8, v[10:11] offset:2048
	ds_store_b64 v8, v[3:4]
	ds_store_b64 v9, v[12:13]
	;; [unrolled: 1-line block ×3, first 2 shown]
	s_waitcnt lgkmcnt(0)
	s_barrier
	buffer_gl0_inv
	ds_load_2addr_b64 v[10:13], v37 offset0:56 offset1:120
	ds_load_2addr_stride64_b64 v[14:17], v41 offset1:1
	v_add_nc_u32_e32 v3, 16, v0
	v_max_u32_e32 v4, 16, v0
	ds_load_b64 v[22:23], v9
	v_cmp_gt_i32_e32 vcc_lo, s3, v3
	v_cndmask_b32_e32 v18, s1, v3, vcc_lo
	v_cmp_gt_u32_e64 s1, 32, v0
	s_waitcnt lgkmcnt(1)
	v_mul_f32_e32 v31, v17, v17
	s_delay_alu instid0(VALU_DEP_1) | instskip(NEXT) | instid1(VALU_DEP_1)
	v_fmac_f32_e32 v31, v16, v16
	v_div_scale_f32 v33, null, v31, v31, 1.0
	v_div_scale_f32 v39, s0, 1.0, v31, 1.0
	s_delay_alu instid0(VALU_DEP_2) | instskip(SKIP_2) | instid1(VALU_DEP_1)
	v_rcp_f32_e32 v35, v33
	s_waitcnt_depctr 0xfff
	v_fma_f32 v19, -v33, v35, 1.0
	v_fmac_f32_e32 v35, v19, v35
	v_subrev_nc_u32_e32 v19, 64, v37
	v_lshlrev_b32_e32 v36, 3, v4
	ds_load_b64 v[3:4], v8
	v_mul_f32_e32 v43, v39, v35
	ds_load_b64 v[24:25], v19
	v_mul_f32_e32 v30, v11, v11
	s_delay_alu instid0(VALU_DEP_1) | instskip(NEXT) | instid1(VALU_DEP_1)
	v_fmac_f32_e32 v30, v10, v10
	v_div_scale_f32 v32, null, v30, v30, 1.0
	v_div_scale_f32 v38, vcc_lo, 1.0, v30, 1.0
	s_delay_alu instid0(VALU_DEP_2) | instskip(SKIP_2) | instid1(VALU_DEP_1)
	v_rcp_f32_e32 v34, v32
	s_waitcnt_depctr 0xfff
	v_fma_f32 v6, -v32, v34, 1.0
	v_fmac_f32_e32 v34, v6, v34
	ds_load_b64 v[6:7], v5
	ds_load_b64 v[26:27], v37 offset:1984
	ds_load_b64 v[28:29], v8 offset:2048
	v_fma_f32 v37, -v33, v43, v39
	s_delay_alu instid0(VALU_DEP_1) | instskip(NEXT) | instid1(VALU_DEP_1)
	v_fmac_f32_e32 v43, v37, v35
	v_fma_f32 v33, -v33, v43, v39
	s_waitcnt lgkmcnt(2)
	v_mul_f32_e32 v37, v17, v7
	v_mul_f32_e64 v17, v17, -v6
	v_mul_f32_e32 v40, v38, v34
	v_lshlrev_b32_e32 v42, 3, v18
	ds_load_2addr_stride64_b64 v[18:21], v41 offset0:2 offset1:4
	v_fmac_f32_e32 v37, v6, v16
	v_fmac_f32_e32 v17, v7, v16
	v_fma_f32 v44, -v32, v40, v38
	v_mul_f32_e32 v41, v11, v4
	v_mul_f32_e64 v11, v11, -v3
	s_waitcnt lgkmcnt(0)
	s_barrier
	v_fmac_f32_e32 v40, v44, v34
	buffer_gl0_inv
	v_fmac_f32_e32 v11, v4, v10
	v_fma_f32 v32, -v32, v40, v38
	s_delay_alu instid0(VALU_DEP_1) | instskip(SKIP_2) | instid1(VALU_DEP_2)
	v_div_fmas_f32 v32, v32, v34, v40
	s_mov_b32 vcc_lo, s0
	v_div_fmas_f32 v33, v33, v35, v43
	v_div_fixup_f32 v4, v32, v30, 1.0
	s_delay_alu instid0(VALU_DEP_1) | instskip(SKIP_1) | instid1(VALU_DEP_4)
	v_mul_f32_e32 v6, v11, v4
	v_fmac_f32_e32 v41, v3, v10
	v_div_fixup_f32 v3, v33, v31, 1.0
	s_delay_alu instid0(VALU_DEP_1) | instskip(NEXT) | instid1(VALU_DEP_4)
	v_mul_f32_e32 v7, v3, v37
	v_dual_mul_f32 v3, v17, v3 :: v_dual_mul_f32 v30, v6, v25
	s_delay_alu instid0(VALU_DEP_4) | instskip(SKIP_1) | instid1(VALU_DEP_3)
	v_dual_mul_f32 v4, v4, v41 :: v_dual_mul_f32 v11, v6, v12
	v_mul_f32_e64 v16, v6, -v27
	v_dual_mul_f32 v17, v6, v26 :: v_dual_mul_f32 v34, v3, v20
	v_mul_f32_e64 v10, v6, -v13
	v_mul_f32_e64 v31, v3, -v15
	v_dual_mul_f32 v32, v3, v14 :: v_dual_fmac_f32 v11, v13, v4
	v_mul_f32_e64 v33, v3, -v21
	v_fmac_f32_e32 v16, v26, v4
	v_dual_fmac_f32 v17, v27, v4 :: v_dual_fmac_f32 v34, v21, v7
	v_dual_mul_f32 v35, v3, v19 :: v_dual_fmac_f32 v10, v12, v4
	s_delay_alu instid0(VALU_DEP_2)
	v_dual_fmac_f32 v32, v15, v7 :: v_dual_sub_f32 v13, v29, v17
	v_fmac_f32_e32 v33, v20, v7
	v_dual_fmac_f32 v31, v14, v7 :: v_dual_sub_f32 v12, v28, v16
	v_mul_f32_e64 v6, v6, -v24
	v_dual_sub_f32 v14, v22, v10 :: v_dual_sub_f32 v15, v23, v11
	v_mul_f32_e64 v37, v3, -v18
	s_delay_alu instid0(VALU_DEP_4)
	v_dual_sub_f32 v10, v12, v33 :: v_dual_sub_f32 v11, v13, v34
	v_fma_f32 v3, -v24, v4, v30
	v_fma_f32 v4, -v25, v4, v6
	v_dual_sub_f32 v12, v14, v31 :: v_dual_sub_f32 v13, v15, v32
	v_fma_f32 v6, -v18, v7, v35
	v_fma_f32 v7, -v19, v7, v37
	ds_store_b64 v8, v[10:11] offset:2048
	ds_store_b64 v8, v[3:4]
	ds_store_b64 v9, v[12:13]
	ds_store_b64 v5, v[6:7]
	s_waitcnt lgkmcnt(0)
	s_barrier
	buffer_gl0_inv
	ds_load_2addr_b64 v[10:13], v36 offset0:48 offset1:112
	ds_load_2addr_stride64_b64 v[14:17], v42 offset1:1
	ds_load_b64 v[3:4], v8
	ds_load_b64 v[22:23], v9
	s_waitcnt lgkmcnt(2)
	v_dual_mul_f32 v30, v11, v11 :: v_dual_mul_f32 v31, v17, v17
	s_delay_alu instid0(VALU_DEP_1) | instskip(NEXT) | instid1(VALU_DEP_1)
	v_dual_fmac_f32 v30, v10, v10 :: v_dual_fmac_f32 v31, v16, v16
	v_div_scale_f32 v32, null, v30, v30, 1.0
	s_delay_alu instid0(VALU_DEP_2) | instskip(SKIP_1) | instid1(VALU_DEP_3)
	v_div_scale_f32 v33, null, v31, v31, 1.0
	v_div_scale_f32 v37, vcc_lo, 1.0, v30, 1.0
	v_rcp_f32_e32 v34, v32
	s_delay_alu instid0(VALU_DEP_2) | instskip(SKIP_4) | instid1(VALU_DEP_1)
	v_rcp_f32_e32 v35, v33
	v_div_scale_f32 v38, s0, 1.0, v31, 1.0
	s_waitcnt_depctr 0xfff
	v_fma_f32 v6, -v32, v34, 1.0
	v_fma_f32 v18, -v33, v35, 1.0
	v_dual_fmac_f32 v35, v18, v35 :: v_dual_add_nc_u32 v18, 0xffffff80, v36
	s_delay_alu instid0(VALU_DEP_1)
	v_mul_f32_e32 v40, v38, v35
	ds_load_b64 v[24:25], v18
	v_fmac_f32_e32 v34, v6, v34
	ds_load_b64 v[6:7], v5
	ds_load_b64 v[26:27], v36 offset:1920
	ds_load_b64 v[28:29], v8 offset:2048
	v_fma_f32 v36, -v33, v40, v38
	ds_load_2addr_stride64_b64 v[18:21], v42 offset0:2 offset1:4
	v_mul_f32_e32 v39, v37, v34
	s_waitcnt lgkmcnt(0)
	s_barrier
	v_fmac_f32_e32 v40, v36, v35
	buffer_gl0_inv
	v_fma_f32 v41, -v32, v39, v37
	v_fma_f32 v33, -v33, v40, v38
	s_delay_alu instid0(VALU_DEP_2) | instskip(SKIP_2) | instid1(VALU_DEP_3)
	v_fmac_f32_e32 v39, v41, v34
	v_mul_f32_e32 v41, v11, v4
	v_mul_f32_e64 v11, v11, -v3
	v_fma_f32 v32, -v32, v39, v37
	s_delay_alu instid0(VALU_DEP_2) | instskip(SKIP_2) | instid1(VALU_DEP_4)
	v_dual_mul_f32 v36, v17, v7 :: v_dual_fmac_f32 v11, v4, v10
	v_mul_f32_e64 v17, v17, -v6
	v_fmac_f32_e32 v41, v3, v10
	v_div_fmas_f32 v32, v32, v34, v39
	s_delay_alu instid0(VALU_DEP_4) | instskip(SKIP_2) | instid1(VALU_DEP_3)
	v_fmac_f32_e32 v36, v6, v16
	s_mov_b32 vcc_lo, s0
	v_div_fmas_f32 v33, v33, v35, v40
	v_div_fixup_f32 v4, v32, v30, 1.0
	v_fmac_f32_e32 v17, v7, v16
	s_delay_alu instid0(VALU_DEP_3) | instskip(NEXT) | instid1(VALU_DEP_3)
	v_div_fixup_f32 v3, v33, v31, 1.0
	v_mul_f32_e32 v6, v11, v4
	s_delay_alu instid0(VALU_DEP_2) | instskip(NEXT) | instid1(VALU_DEP_2)
	v_dual_mul_f32 v4, v4, v41 :: v_dual_mul_f32 v7, v3, v36
	v_dual_mul_f32 v3, v17, v3 :: v_dual_mul_f32 v30, v6, v25
	v_mul_f32_e64 v16, v6, -v27
	v_mul_f32_e32 v17, v6, v26
	v_mul_f32_e64 v10, v6, -v13
	s_delay_alu instid0(VALU_DEP_4)
	v_mul_f32_e32 v34, v3, v20
	v_dual_mul_f32 v11, v6, v12 :: v_dual_mul_f32 v32, v3, v14
	v_mul_f32_e64 v31, v3, -v15
	v_mul_f32_e64 v33, v3, -v21
	v_fmac_f32_e32 v16, v26, v4
	v_dual_fmac_f32 v17, v27, v4 :: v_dual_fmac_f32 v34, v21, v7
	v_dual_mul_f32 v35, v3, v19 :: v_dual_fmac_f32 v10, v12, v4
	v_dual_fmac_f32 v11, v13, v4 :: v_dual_fmac_f32 v32, v15, v7
	v_fmac_f32_e32 v33, v20, v7
	v_dual_fmac_f32 v31, v14, v7 :: v_dual_sub_f32 v12, v28, v16
	s_delay_alu instid0(VALU_DEP_4) | instskip(SKIP_1) | instid1(VALU_DEP_3)
	v_dual_sub_f32 v13, v29, v17 :: v_dual_sub_f32 v14, v22, v10
	v_mul_f32_e64 v6, v6, -v24
	v_dual_sub_f32 v15, v23, v11 :: v_dual_sub_f32 v10, v12, v33
	v_mul_f32_e64 v36, v3, -v18
	s_delay_alu instid0(VALU_DEP_4)
	v_dual_sub_f32 v11, v13, v34 :: v_dual_sub_f32 v12, v14, v31
	v_fma_f32 v3, -v24, v4, v30
	v_fma_f32 v4, -v25, v4, v6
	v_sub_f32_e32 v13, v15, v32
	v_fma_f32 v6, -v18, v7, v35
	v_fma_f32 v7, -v19, v7, v36
	ds_store_b64 v8, v[10:11] offset:2048
	ds_store_b64 v8, v[3:4]
	ds_store_b64 v9, v[12:13]
	;; [unrolled: 1-line block ×3, first 2 shown]
	s_waitcnt lgkmcnt(0)
	s_barrier
	buffer_gl0_inv
	s_and_saveexec_b32 s0, s1
	s_cbranch_execz .LBB55_14
; %bb.9:
	v_or_b32_e32 v6, 32, v0
	v_or_b32_e32 v7, 0x800, v8
	s_mov_b32 s1, exec_lo
                                        ; implicit-def: $vgpr4
	s_delay_alu instid0(VALU_DEP_2)
	v_cmpx_le_i32_e64 s3, v6
	s_xor_b32 s1, exec_lo, s1
	s_cbranch_execz .LBB55_11
; %bb.10:
	ds_load_b64 v[3:4], v9
	s_waitcnt lgkmcnt(0)
	v_mul_f32_e32 v9, v4, v4
	s_delay_alu instid0(VALU_DEP_1) | instskip(NEXT) | instid1(VALU_DEP_1)
	v_fmac_f32_e32 v9, v3, v3
	v_div_scale_f32 v10, null, v9, v9, 1.0
	v_div_scale_f32 v12, vcc_lo, 1.0, v9, 1.0
	s_delay_alu instid0(VALU_DEP_2) | instskip(SKIP_2) | instid1(VALU_DEP_1)
	v_rcp_f32_e32 v11, v10
	s_waitcnt_depctr 0xfff
	v_fma_f32 v5, -v10, v11, 1.0
	v_fmac_f32_e32 v11, v5, v11
	ds_load_b64 v[5:6], v7
	v_mul_f32_e32 v7, v12, v11
	s_delay_alu instid0(VALU_DEP_1) | instskip(NEXT) | instid1(VALU_DEP_1)
	v_fma_f32 v13, -v10, v7, v12
	v_fmac_f32_e32 v7, v13, v11
	s_delay_alu instid0(VALU_DEP_1) | instskip(SKIP_3) | instid1(VALU_DEP_3)
	v_fma_f32 v10, -v10, v7, v12
	s_waitcnt lgkmcnt(0)
	v_mul_f32_e32 v12, v4, v6
	v_mul_f32_e64 v4, v4, -v5
	v_div_fmas_f32 v7, v10, v11, v7
	s_delay_alu instid0(VALU_DEP_3) | instskip(NEXT) | instid1(VALU_DEP_2)
	v_fmac_f32_e32 v12, v5, v3
	v_div_fixup_f32 v5, v7, v9, 1.0
	s_delay_alu instid0(VALU_DEP_4) | instskip(NEXT) | instid1(VALU_DEP_1)
	v_fmac_f32_e32 v4, v6, v3
                                        ; implicit-def: $vgpr9
                                        ; implicit-def: $vgpr7
                                        ; implicit-def: $vgpr6
	v_dual_mul_f32 v3, v5, v12 :: v_dual_mul_f32 v4, v4, v5
                                        ; implicit-def: $vgpr5
.LBB55_11:
	s_and_not1_saveexec_b32 s1, s1
	s_cbranch_execz .LBB55_13
; %bb.12:
	ds_load_2addr_b64 v[9:12], v9 offset1:32
	ds_load_b64 v[3:4], v5
	ds_load_b64 v[17:18], v8 offset:256
	s_waitcnt lgkmcnt(2)
	v_mul_f32_e64 v13, v10, -v12
	s_waitcnt lgkmcnt(0)
	v_mul_f32_e32 v5, v18, v3
	v_mul_f32_e32 v0, v10, v11
	v_mul_f32_e64 v14, v18, -v4
	v_fmac_f32_e32 v13, v11, v9
	s_delay_alu instid0(VALU_DEP_4) | instskip(NEXT) | instid1(VALU_DEP_4)
	v_fmac_f32_e32 v5, v4, v17
	v_fmac_f32_e32 v0, v12, v9
	s_delay_alu instid0(VALU_DEP_1) | instskip(NEXT) | instid1(VALU_DEP_1)
	v_sub_f32_e32 v0, v0, v5
	v_dual_fmac_f32 v14, v3, v17 :: v_dual_mul_f32 v19, v0, v0
	s_delay_alu instid0(VALU_DEP_1)
	v_sub_f32_e32 v5, v13, v14
	ds_load_2addr_b64 v[13:16], v7 offset1:32
	s_waitcnt lgkmcnt(0)
	v_mul_f32_e64 v26, v16, -v4
	v_fmac_f32_e32 v19, v5, v5
	v_mul_f32_e32 v27, v16, v3
	v_mul_f32_e64 v28, v10, -v16
	v_mul_f32_e64 v23, v14, -v12
	v_fmac_f32_e32 v26, v3, v15
	v_div_scale_f32 v20, null, v19, v19, 1.0
	v_div_scale_f32 v22, vcc_lo, 1.0, v19, 1.0
	v_fmac_f32_e32 v27, v4, v15
	s_delay_alu instid0(VALU_DEP_3)
	v_rcp_f32_e32 v21, v20
	v_fma_f32 v4, v5, 0, -v0
	v_dual_mul_f32 v25, v14, v11 :: v_dual_fmac_f32 v28, v15, v9
	v_fma_f32 v0, 0, v0, v5
	v_dual_fmac_f32 v23, v11, v13 :: v_dual_mul_f32 v10, v10, v15
	s_waitcnt_depctr 0xfff
	v_fma_f32 v7, -v20, v21, 1.0
	v_sub_f32_e32 v5, v23, v26
	s_delay_alu instid0(VALU_DEP_2) | instskip(NEXT) | instid1(VALU_DEP_1)
	v_fmac_f32_e32 v21, v7, v21
	v_mul_f32_e32 v7, v22, v21
	s_delay_alu instid0(VALU_DEP_1) | instskip(NEXT) | instid1(VALU_DEP_1)
	v_fma_f32 v24, -v20, v7, v22
	v_fmac_f32_e32 v7, v24, v21
	v_mul_f32_e64 v24, v18, -v14
	v_mul_f32_e32 v18, v18, v13
	s_delay_alu instid0(VALU_DEP_3) | instskip(NEXT) | instid1(VALU_DEP_3)
	v_fma_f32 v11, -v20, v7, v22
	v_fmac_f32_e32 v24, v13, v17
	v_fmac_f32_e32 v10, v16, v9
	s_delay_alu instid0(VALU_DEP_3) | instskip(NEXT) | instid1(VALU_DEP_1)
	v_div_fmas_f32 v3, v11, v21, v7
	v_div_fixup_f32 v3, v3, v19, 1.0
	s_delay_alu instid0(VALU_DEP_1) | instskip(SKIP_2) | instid1(VALU_DEP_1)
	v_mul_f32_e32 v4, v4, v3
	v_mul_f32_e32 v0, v0, v3
	v_fmac_f32_e32 v18, v14, v17
	v_dual_sub_f32 v11, v10, v18 :: v_dual_mul_f32 v10, v5, v4
	v_fmac_f32_e32 v25, v12, v13
	v_sub_f32_e32 v12, v28, v24
	s_delay_alu instid0(VALU_DEP_3) | instskip(NEXT) | instid1(VALU_DEP_3)
	v_mul_f32_e64 v3, v4, -v11
	v_sub_f32_e32 v7, v25, v27
	s_delay_alu instid0(VALU_DEP_2) | instskip(NEXT) | instid1(VALU_DEP_2)
	v_fmac_f32_e32 v3, v12, v0
	v_mul_f32_e64 v9, v4, -v7
	v_mul_f32_e32 v4, v4, v12
	v_fmac_f32_e32 v10, v7, v0
	s_delay_alu instid0(VALU_DEP_3) | instskip(NEXT) | instid1(VALU_DEP_3)
	v_fmac_f32_e32 v9, v5, v0
	v_fmac_f32_e32 v4, v11, v0
	v_mov_b32_e32 v0, v6
	ds_store_b64 v8, v[9:10] offset:1536
.LBB55_13:
	s_or_b32 exec_lo, exec_lo, s1
	v_lshlrev_b32_e32 v0, 3, v0
	ds_store_b64 v0, v[3:4] offset:1536
.LBB55_14:
	s_or_b32 exec_lo, exec_lo, s0
	s_waitcnt lgkmcnt(0)
	s_barrier
	buffer_gl0_inv
	s_and_saveexec_b32 s0, s2
	s_cbranch_execz .LBB55_16
; %bb.15:
	ds_load_b64 v[3:4], v8 offset:1536
	v_lshlrev_b64 v[0:1], 3, v[1:2]
	s_delay_alu instid0(VALU_DEP_1) | instskip(NEXT) | instid1(VALU_DEP_2)
	v_add_co_u32 v0, vcc_lo, s4, v0
	v_add_co_ci_u32_e32 v1, vcc_lo, s5, v1, vcc_lo
	s_waitcnt lgkmcnt(0)
	global_store_b64 v[0:1], v[3:4], off
.LBB55_16:
	s_nop 0
	s_sendmsg sendmsg(MSG_DEALLOC_VGPRS)
	s_endpgm
	.section	.rodata,"a",@progbits
	.p2align	6, 0x0
	.amdhsa_kernel _ZN9rocsparseL44gtsv_nopivot_strided_batch_pcr_shared_kernelILj64E21rocsparse_complex_numIfEEEviiiPKT0_S5_S5_PS3_
		.amdhsa_group_segment_fixed_size 2560
		.amdhsa_private_segment_fixed_size 0
		.amdhsa_kernarg_size 48
		.amdhsa_user_sgpr_count 15
		.amdhsa_user_sgpr_dispatch_ptr 0
		.amdhsa_user_sgpr_queue_ptr 0
		.amdhsa_user_sgpr_kernarg_segment_ptr 1
		.amdhsa_user_sgpr_dispatch_id 0
		.amdhsa_user_sgpr_private_segment_size 0
		.amdhsa_wavefront_size32 1
		.amdhsa_uses_dynamic_stack 0
		.amdhsa_enable_private_segment 0
		.amdhsa_system_sgpr_workgroup_id_x 1
		.amdhsa_system_sgpr_workgroup_id_y 0
		.amdhsa_system_sgpr_workgroup_id_z 0
		.amdhsa_system_sgpr_workgroup_info 0
		.amdhsa_system_vgpr_workitem_id 0
		.amdhsa_next_free_vgpr 45
		.amdhsa_next_free_sgpr 16
		.amdhsa_reserve_vcc 1
		.amdhsa_float_round_mode_32 0
		.amdhsa_float_round_mode_16_64 0
		.amdhsa_float_denorm_mode_32 3
		.amdhsa_float_denorm_mode_16_64 3
		.amdhsa_dx10_clamp 1
		.amdhsa_ieee_mode 1
		.amdhsa_fp16_overflow 0
		.amdhsa_workgroup_processor_mode 1
		.amdhsa_memory_ordered 1
		.amdhsa_forward_progress 0
		.amdhsa_shared_vgpr_count 0
		.amdhsa_exception_fp_ieee_invalid_op 0
		.amdhsa_exception_fp_denorm_src 0
		.amdhsa_exception_fp_ieee_div_zero 0
		.amdhsa_exception_fp_ieee_overflow 0
		.amdhsa_exception_fp_ieee_underflow 0
		.amdhsa_exception_fp_ieee_inexact 0
		.amdhsa_exception_int_div_zero 0
	.end_amdhsa_kernel
	.section	.text._ZN9rocsparseL44gtsv_nopivot_strided_batch_pcr_shared_kernelILj64E21rocsparse_complex_numIfEEEviiiPKT0_S5_S5_PS3_,"axG",@progbits,_ZN9rocsparseL44gtsv_nopivot_strided_batch_pcr_shared_kernelILj64E21rocsparse_complex_numIfEEEviiiPKT0_S5_S5_PS3_,comdat
.Lfunc_end55:
	.size	_ZN9rocsparseL44gtsv_nopivot_strided_batch_pcr_shared_kernelILj64E21rocsparse_complex_numIfEEEviiiPKT0_S5_S5_PS3_, .Lfunc_end55-_ZN9rocsparseL44gtsv_nopivot_strided_batch_pcr_shared_kernelILj64E21rocsparse_complex_numIfEEEviiiPKT0_S5_S5_PS3_
                                        ; -- End function
	.section	.AMDGPU.csdata,"",@progbits
; Kernel info:
; codeLenInByte = 4200
; NumSgprs: 18
; NumVgprs: 45
; ScratchSize: 0
; MemoryBound: 0
; FloatMode: 240
; IeeeMode: 1
; LDSByteSize: 2560 bytes/workgroup (compile time only)
; SGPRBlocks: 2
; VGPRBlocks: 5
; NumSGPRsForWavesPerEU: 18
; NumVGPRsForWavesPerEU: 45
; Occupancy: 16
; WaveLimiterHint : 0
; COMPUTE_PGM_RSRC2:SCRATCH_EN: 0
; COMPUTE_PGM_RSRC2:USER_SGPR: 15
; COMPUTE_PGM_RSRC2:TRAP_HANDLER: 0
; COMPUTE_PGM_RSRC2:TGID_X_EN: 1
; COMPUTE_PGM_RSRC2:TGID_Y_EN: 0
; COMPUTE_PGM_RSRC2:TGID_Z_EN: 0
; COMPUTE_PGM_RSRC2:TIDIG_COMP_CNT: 0
	.section	.text._ZN9rocsparseL44gtsv_nopivot_strided_batch_pcr_shared_kernelILj128E21rocsparse_complex_numIfEEEviiiPKT0_S5_S5_PS3_,"axG",@progbits,_ZN9rocsparseL44gtsv_nopivot_strided_batch_pcr_shared_kernelILj128E21rocsparse_complex_numIfEEEviiiPKT0_S5_S5_PS3_,comdat
	.globl	_ZN9rocsparseL44gtsv_nopivot_strided_batch_pcr_shared_kernelILj128E21rocsparse_complex_numIfEEEviiiPKT0_S5_S5_PS3_ ; -- Begin function _ZN9rocsparseL44gtsv_nopivot_strided_batch_pcr_shared_kernelILj128E21rocsparse_complex_numIfEEEviiiPKT0_S5_S5_PS3_
	.p2align	8
	.type	_ZN9rocsparseL44gtsv_nopivot_strided_batch_pcr_shared_kernelILj128E21rocsparse_complex_numIfEEEviiiPKT0_S5_S5_PS3_,@function
_ZN9rocsparseL44gtsv_nopivot_strided_batch_pcr_shared_kernelILj128E21rocsparse_complex_numIfEEEviiiPKT0_S5_S5_PS3_: ; @_ZN9rocsparseL44gtsv_nopivot_strided_batch_pcr_shared_kernelILj128E21rocsparse_complex_numIfEEEviiiPKT0_S5_S5_PS3_
; %bb.0:
	s_clause 0x1
	s_load_b32 s2, s[0:1], 0x8
	s_load_b32 s3, s[0:1], 0x0
	v_dual_mov_b32 v3, 0 :: v_dual_mov_b32 v6, 0
	v_mov_b32_e32 v5, 0
	s_waitcnt lgkmcnt(0)
	v_mad_u64_u32 v[1:2], null, s15, s2, v[0:1]
	v_cmp_gt_i32_e64 s2, s3, v0
	s_delay_alu instid0(VALU_DEP_2) | instskip(NEXT) | instid1(VALU_DEP_2)
	v_ashrrev_i32_e32 v2, 31, v1
	s_and_saveexec_b32 s4, s2
	s_cbranch_execz .LBB56_2
; %bb.1:
	s_load_b64 s[6:7], s[0:1], 0x10
	s_delay_alu instid0(VALU_DEP_1) | instskip(SKIP_1) | instid1(VALU_DEP_1)
	v_lshlrev_b64 v[4:5], 3, v[1:2]
	s_waitcnt lgkmcnt(0)
	v_add_co_u32 v4, vcc_lo, s6, v4
	s_delay_alu instid0(VALU_DEP_2)
	v_add_co_ci_u32_e32 v5, vcc_lo, s7, v5, vcc_lo
	global_load_b64 v[5:6], v[4:5], off
.LBB56_2:
	s_or_b32 exec_lo, exec_lo, s4
	v_dual_mov_b32 v4, 0 :: v_dual_lshlrev_b32 v9, 3, v0
	s_waitcnt vmcnt(0)
	ds_store_b64 v9, v[5:6]
	s_and_saveexec_b32 s4, s2
	s_cbranch_execz .LBB56_4
; %bb.3:
	s_load_b64 s[6:7], s[0:1], 0x18
	v_lshlrev_b64 v[3:4], 3, v[1:2]
	s_waitcnt lgkmcnt(0)
	s_delay_alu instid0(VALU_DEP_1) | instskip(NEXT) | instid1(VALU_DEP_2)
	v_add_co_u32 v3, vcc_lo, s6, v3
	v_add_co_ci_u32_e32 v4, vcc_lo, s7, v4, vcc_lo
	global_load_b64 v[3:4], v[3:4], off
.LBB56_4:
	s_or_b32 exec_lo, exec_lo, s4
	s_load_b64 s[4:5], s[0:1], 0x28
	v_dual_mov_b32 v5, 0 :: v_dual_mov_b32 v8, 0
	v_mov_b32_e32 v7, 0
	s_waitcnt vmcnt(0)
	ds_store_b64 v9, v[3:4] offset:1024
	s_and_saveexec_b32 s6, s2
	s_cbranch_execz .LBB56_6
; %bb.5:
	s_load_b64 s[0:1], s[0:1], 0x20
	v_lshlrev_b64 v[3:4], 3, v[1:2]
	s_waitcnt lgkmcnt(0)
	s_delay_alu instid0(VALU_DEP_1) | instskip(NEXT) | instid1(VALU_DEP_2)
	v_add_co_u32 v3, vcc_lo, s0, v3
	v_add_co_ci_u32_e32 v4, vcc_lo, s1, v4, vcc_lo
	global_load_b64 v[7:8], v[3:4], off
.LBB56_6:
	s_or_b32 exec_lo, exec_lo, s6
	v_mov_b32_e32 v6, 0
	s_waitcnt vmcnt(0)
	ds_store_b64 v9, v[7:8] offset:2048
	s_and_saveexec_b32 s0, s2
	s_cbranch_execz .LBB56_8
; %bb.7:
	v_lshlrev_b64 v[3:4], 3, v[1:2]
	s_waitcnt lgkmcnt(0)
	s_delay_alu instid0(VALU_DEP_1) | instskip(NEXT) | instid1(VALU_DEP_2)
	v_add_co_u32 v3, vcc_lo, s4, v3
	v_add_co_ci_u32_e32 v4, vcc_lo, s5, v4, vcc_lo
	global_load_b64 v[5:6], v[3:4], off
.LBB56_8:
	s_or_b32 exec_lo, exec_lo, s0
	v_or_b32_e32 v10, 0x400, v9
	v_or_b32_e32 v8, 0x800, v9
	;; [unrolled: 1-line block ×3, first 2 shown]
	s_add_i32 s1, s3, -1
	s_mov_b32 s6, 1
	s_mov_b32 s7, 6
	s_waitcnt vmcnt(0)
	ds_store_b64 v9, v[5:6] offset:4096
	s_waitcnt lgkmcnt(0)
	s_barrier
	buffer_gl0_inv
.LBB56_9:                               ; =>This Inner Loop Header: Depth=1
	ds_load_b64 v[23:24], v9
	ds_load_b64 v[25:26], v7
	;; [unrolled: 1-line block ×4, first 2 shown]
	v_add_nc_u32_e32 v3, s6, v0
	v_subrev_nc_u32_e32 v4, s6, v0
	s_add_i32 s7, s7, -1
	s_lshl_b32 s6, s6, 1
	s_cmp_eq_u32 s7, 0
	v_cmp_gt_i32_e32 vcc_lo, s3, v3
	v_max_i32_e32 v4, 0, v4
	v_cndmask_b32_e32 v3, s1, v3, vcc_lo
	s_delay_alu instid0(VALU_DEP_2) | instskip(NEXT) | instid1(VALU_DEP_2)
	v_lshlrev_b32_e32 v15, 3, v4
	v_lshlrev_b32_e32 v19, 3, v3
	ds_load_2addr_stride64_b64 v[3:6], v15 offset1:2
	ds_load_2addr_stride64_b64 v[11:14], v19 offset1:2
	ds_load_2addr_stride64_b64 v[15:18], v15 offset0:4 offset1:8
	ds_load_2addr_stride64_b64 v[19:22], v19 offset0:4 offset1:8
	s_waitcnt lgkmcnt(0)
	s_barrier
	buffer_gl0_inv
	v_mul_f32_e32 v32, v6, v24
	v_mul_f32_e32 v34, v14, v28
	;; [unrolled: 1-line block ×3, first 2 shown]
	v_mul_f32_e64 v14, v14, -v27
	v_mul_f32_e32 v31, v6, v6
	v_mul_f32_e64 v6, v6, -v23
	v_fmac_f32_e32 v34, v27, v13
	v_fmac_f32_e32 v32, v23, v5
	;; [unrolled: 1-line block ×5, first 2 shown]
	s_delay_alu instid0(VALU_DEP_2) | instskip(SKIP_1) | instid1(VALU_DEP_2)
	v_div_scale_f32 v23, null, v33, v33, 1.0
	v_div_scale_f32 v24, s0, 1.0, v33, 1.0
	v_rcp_f32_e32 v28, v23
	s_waitcnt_depctr 0xfff
	v_fma_f32 v36, -v23, v28, 1.0
	s_delay_alu instid0(VALU_DEP_1) | instskip(NEXT) | instid1(VALU_DEP_1)
	v_dual_fmac_f32 v31, v5, v5 :: v_dual_fmac_f32 v28, v36, v28
	v_div_scale_f32 v5, null, v31, v31, 1.0
	v_div_scale_f32 v13, vcc_lo, 1.0, v31, 1.0
	s_delay_alu instid0(VALU_DEP_3) | instskip(NEXT) | instid1(VALU_DEP_3)
	v_mul_f32_e32 v36, v24, v28
	v_rcp_f32_e32 v27, v5
	s_delay_alu instid0(VALU_DEP_1) | instskip(NEXT) | instid1(VALU_DEP_1)
	v_fma_f32 v38, -v23, v36, v24
	v_fmac_f32_e32 v36, v38, v28
	s_waitcnt_depctr 0xfff
	v_fma_f32 v35, -v5, v27, 1.0
	s_delay_alu instid0(VALU_DEP_1) | instskip(NEXT) | instid1(VALU_DEP_1)
	v_fmac_f32_e32 v27, v35, v27
	v_mul_f32_e32 v35, v13, v27
	s_delay_alu instid0(VALU_DEP_1) | instskip(NEXT) | instid1(VALU_DEP_1)
	v_fma_f32 v37, -v5, v35, v13
	v_fmac_f32_e32 v35, v37, v27
	s_delay_alu instid0(VALU_DEP_1) | instskip(SKIP_1) | instid1(VALU_DEP_2)
	v_fma_f32 v5, -v5, v35, v13
	v_fma_f32 v13, -v23, v36, v24
	v_div_fmas_f32 v5, v5, v27, v35
	s_mov_b32 vcc_lo, s0
	s_delay_alu instid0(VALU_DEP_2) | instskip(NEXT) | instid1(VALU_DEP_2)
	v_div_fmas_f32 v13, v13, v28, v36
	v_div_fixup_f32 v5, v5, v31, 1.0
	s_delay_alu instid0(VALU_DEP_2) | instskip(NEXT) | instid1(VALU_DEP_2)
	v_div_fixup_f32 v13, v13, v33, 1.0
	v_dual_mul_f32 v6, v6, v5 :: v_dual_mul_f32 v5, v5, v32
	s_delay_alu instid0(VALU_DEP_1) | instskip(SKIP_3) | instid1(VALU_DEP_4)
	v_dual_mul_f32 v24, v6, v15 :: v_dual_mul_f32 v23, v13, v34
	v_mul_f32_e32 v13, v14, v13
	v_mul_f32_e64 v14, v6, -v16
	v_mul_f32_e32 v28, v6, v17
	v_dual_mul_f32 v31, v6, v4 :: v_dual_fmac_f32 v24, v16, v5
	s_delay_alu instid0(VALU_DEP_4) | instskip(NEXT) | instid1(VALU_DEP_4)
	v_mul_f32_e64 v32, v13, -v12
	v_fmac_f32_e32 v14, v15, v5
	v_mul_f32_e64 v27, v6, -v18
	v_fmac_f32_e32 v28, v18, v5
	;; [unrolled: 2-line block ×3, first 2 shown]
	v_mul_f32_e32 v33, v13, v11
	v_mul_f32_e32 v35, v13, v21
	;; [unrolled: 1-line block ×3, first 2 shown]
	v_mul_f32_e64 v34, v13, -v22
	v_mul_f32_e64 v13, v13, -v19
	v_dual_fmac_f32 v33, v12, v23 :: v_dual_sub_f32 v12, v30, v24
	v_fmac_f32_e32 v27, v17, v5
	v_fmac_f32_e32 v35, v22, v23
	v_fma_f32 v4, -v4, v5, v6
	v_fma_f32 v6, -v20, v23, v13
	v_dual_sub_f32 v12, v12, v33 :: v_dual_sub_f32 v11, v29, v14
	v_dual_sub_f32 v14, v26, v28 :: v_dual_sub_f32 v13, v25, v27
	v_fma_f32 v3, -v3, v5, v31
	v_fma_f32 v5, -v19, v23, v36
	s_delay_alu instid0(VALU_DEP_3) | instskip(SKIP_1) | instid1(VALU_DEP_1)
	v_sub_f32_e32 v14, v14, v35
	v_dual_fmac_f32 v34, v21, v23 :: v_dual_sub_f32 v11, v11, v32
	v_sub_f32_e32 v13, v13, v34
	ds_store_b64 v10, v[11:12]
	ds_store_b64 v9, v[3:4]
	;; [unrolled: 1-line block ×4, first 2 shown]
	s_waitcnt lgkmcnt(0)
	s_barrier
	buffer_gl0_inv
	s_cbranch_scc0 .LBB56_9
; %bb.10:
	s_mov_b32 s0, exec_lo
	v_cmpx_gt_u32_e32 64, v0
	s_cbranch_execz .LBB56_16
; %bb.11:
	v_or_b32_e32 v5, 64, v0
	s_mov_b32 s1, exec_lo
                                        ; implicit-def: $vgpr4
	s_delay_alu instid0(VALU_DEP_1)
	v_cmpx_le_i32_e64 s3, v5
	s_xor_b32 s1, exec_lo, s1
	s_cbranch_execz .LBB56_13
; %bb.12:
	ds_load_b64 v[3:4], v10
	s_waitcnt lgkmcnt(0)
	v_mul_f32_e32 v8, v4, v4
	s_delay_alu instid0(VALU_DEP_1) | instskip(NEXT) | instid1(VALU_DEP_1)
	v_fmac_f32_e32 v8, v3, v3
	v_div_scale_f32 v10, null, v8, v8, 1.0
	v_div_scale_f32 v12, vcc_lo, 1.0, v8, 1.0
	s_delay_alu instid0(VALU_DEP_2) | instskip(SKIP_2) | instid1(VALU_DEP_1)
	v_rcp_f32_e32 v11, v10
	s_waitcnt_depctr 0xfff
	v_fma_f32 v5, -v10, v11, 1.0
	v_fmac_f32_e32 v11, v5, v11
	ds_load_b64 v[5:6], v7
	v_mul_f32_e32 v7, v12, v11
	s_delay_alu instid0(VALU_DEP_1) | instskip(NEXT) | instid1(VALU_DEP_1)
	v_fma_f32 v13, -v10, v7, v12
	v_fmac_f32_e32 v7, v13, v11
	s_delay_alu instid0(VALU_DEP_1) | instskip(SKIP_3) | instid1(VALU_DEP_3)
	v_fma_f32 v10, -v10, v7, v12
	s_waitcnt lgkmcnt(0)
	v_mul_f32_e32 v12, v4, v6
	v_mul_f32_e64 v4, v4, -v5
	v_div_fmas_f32 v7, v10, v11, v7
	s_delay_alu instid0(VALU_DEP_3) | instskip(NEXT) | instid1(VALU_DEP_3)
	v_fmac_f32_e32 v12, v5, v3
	v_fmac_f32_e32 v4, v6, v3
                                        ; implicit-def: $vgpr10
	s_delay_alu instid0(VALU_DEP_3) | instskip(NEXT) | instid1(VALU_DEP_1)
	v_div_fixup_f32 v5, v7, v8, 1.0
                                        ; implicit-def: $vgpr8
                                        ; implicit-def: $vgpr7
	v_dual_mul_f32 v3, v5, v12 :: v_dual_mul_f32 v4, v4, v5
                                        ; implicit-def: $vgpr5
.LBB56_13:
	s_and_not1_saveexec_b32 s1, s1
	s_cbranch_execz .LBB56_15
; %bb.14:
	ds_load_2addr_stride64_b64 v[10:13], v10 offset1:1
	ds_load_b64 v[3:4], v8
	ds_load_b64 v[18:19], v9 offset:512
	s_waitcnt lgkmcnt(2)
	v_mul_f32_e32 v0, v11, v12
	v_mul_f32_e64 v8, v11, -v13
	s_waitcnt lgkmcnt(0)
	v_mul_f32_e32 v6, v19, v3
	v_mul_f32_e64 v14, v19, -v4
	v_fmac_f32_e32 v0, v13, v10
	v_fmac_f32_e32 v8, v12, v10
	s_delay_alu instid0(VALU_DEP_4) | instskip(NEXT) | instid1(VALU_DEP_4)
	v_fmac_f32_e32 v6, v4, v18
	v_fmac_f32_e32 v14, v3, v18
	s_delay_alu instid0(VALU_DEP_2) | instskip(NEXT) | instid1(VALU_DEP_2)
	v_sub_f32_e32 v0, v0, v6
	v_sub_f32_e32 v6, v8, v14
	ds_load_2addr_stride64_b64 v[14:17], v7 offset1:1
	s_waitcnt lgkmcnt(0)
	v_mul_f32_e64 v28, v11, -v17
	v_mul_f32_e32 v11, v11, v16
	v_mul_f32_e32 v8, v0, v0
	v_mul_f32_e64 v23, v15, -v13
	v_mul_f32_e32 v25, v15, v12
	v_mul_f32_e64 v26, v17, -v4
	s_delay_alu instid0(VALU_DEP_4) | instskip(NEXT) | instid1(VALU_DEP_2)
	v_dual_mul_f32 v27, v17, v3 :: v_dual_fmac_f32 v8, v6, v6
	v_dual_fmac_f32 v23, v12, v14 :: v_dual_fmac_f32 v26, v3, v16
	s_delay_alu instid0(VALU_DEP_2) | instskip(NEXT) | instid1(VALU_DEP_3)
	v_fmac_f32_e32 v27, v4, v16
	v_div_scale_f32 v20, null, v8, v8, 1.0
	v_div_scale_f32 v22, vcc_lo, 1.0, v8, 1.0
	s_delay_alu instid0(VALU_DEP_2) | instskip(SKIP_2) | instid1(VALU_DEP_1)
	v_rcp_f32_e32 v21, v20
	s_waitcnt_depctr 0xfff
	v_fma_f32 v7, -v20, v21, 1.0
	v_fmac_f32_e32 v21, v7, v21
	s_delay_alu instid0(VALU_DEP_1) | instskip(NEXT) | instid1(VALU_DEP_1)
	v_mul_f32_e32 v7, v22, v21
	v_fma_f32 v24, -v20, v7, v22
	s_delay_alu instid0(VALU_DEP_1) | instskip(SKIP_2) | instid1(VALU_DEP_3)
	v_fmac_f32_e32 v7, v24, v21
	v_mul_f32_e64 v24, v19, -v15
	v_mul_f32_e32 v19, v19, v14
	v_fma_f32 v12, -v20, v7, v22
	s_delay_alu instid0(VALU_DEP_3) | instskip(SKIP_1) | instid1(VALU_DEP_4)
	v_fmac_f32_e32 v24, v14, v18
	v_fmac_f32_e32 v11, v17, v10
	;; [unrolled: 1-line block ×3, first 2 shown]
	s_delay_alu instid0(VALU_DEP_4) | instskip(NEXT) | instid1(VALU_DEP_2)
	v_div_fmas_f32 v3, v12, v21, v7
	v_sub_f32_e32 v11, v11, v19
	v_fma_f32 v4, v6, 0, -v0
	s_delay_alu instid0(VALU_DEP_3) | instskip(SKIP_2) | instid1(VALU_DEP_3)
	v_div_fixup_f32 v3, v3, v8, 1.0
	v_fmac_f32_e32 v25, v13, v14
	v_fma_f32 v0, 0, v0, v6
	v_mul_f32_e32 v4, v4, v3
	v_fmac_f32_e32 v28, v16, v10
	v_sub_f32_e32 v10, v23, v26
	v_sub_f32_e32 v8, v25, v27
	v_mul_f32_e32 v0, v0, v3
	v_mul_f32_e64 v3, v4, -v11
	s_delay_alu instid0(VALU_DEP_4) | instskip(NEXT) | instid1(VALU_DEP_4)
	v_mul_f32_e32 v7, v10, v4
	v_mul_f32_e64 v6, v4, -v8
	s_delay_alu instid0(VALU_DEP_2) | instskip(SKIP_1) | instid1(VALU_DEP_3)
	v_fmac_f32_e32 v7, v8, v0
	v_sub_f32_e32 v12, v28, v24
	v_fmac_f32_e32 v6, v10, v0
	s_delay_alu instid0(VALU_DEP_2)
	v_mul_f32_e32 v4, v4, v12
	v_fmac_f32_e32 v3, v12, v0
	ds_store_b64 v9, v[6:7] offset:3072
	v_fmac_f32_e32 v4, v11, v0
	v_mov_b32_e32 v0, v5
.LBB56_15:
	s_or_b32 exec_lo, exec_lo, s1
	s_delay_alu instid0(VALU_DEP_1)
	v_lshlrev_b32_e32 v0, 3, v0
	ds_store_b64 v0, v[3:4] offset:3072
.LBB56_16:
	s_or_b32 exec_lo, exec_lo, s0
	s_waitcnt lgkmcnt(0)
	s_barrier
	buffer_gl0_inv
	s_and_saveexec_b32 s0, s2
	s_cbranch_execz .LBB56_18
; %bb.17:
	ds_load_b64 v[3:4], v9 offset:3072
	v_lshlrev_b64 v[0:1], 3, v[1:2]
	s_delay_alu instid0(VALU_DEP_1) | instskip(NEXT) | instid1(VALU_DEP_2)
	v_add_co_u32 v0, vcc_lo, s4, v0
	v_add_co_ci_u32_e32 v1, vcc_lo, s5, v1, vcc_lo
	s_waitcnt lgkmcnt(0)
	global_store_b64 v[0:1], v[3:4], off
.LBB56_18:
	s_nop 0
	s_sendmsg sendmsg(MSG_DEALLOC_VGPRS)
	s_endpgm
	.section	.rodata,"a",@progbits
	.p2align	6, 0x0
	.amdhsa_kernel _ZN9rocsparseL44gtsv_nopivot_strided_batch_pcr_shared_kernelILj128E21rocsparse_complex_numIfEEEviiiPKT0_S5_S5_PS3_
		.amdhsa_group_segment_fixed_size 5120
		.amdhsa_private_segment_fixed_size 0
		.amdhsa_kernarg_size 48
		.amdhsa_user_sgpr_count 15
		.amdhsa_user_sgpr_dispatch_ptr 0
		.amdhsa_user_sgpr_queue_ptr 0
		.amdhsa_user_sgpr_kernarg_segment_ptr 1
		.amdhsa_user_sgpr_dispatch_id 0
		.amdhsa_user_sgpr_private_segment_size 0
		.amdhsa_wavefront_size32 1
		.amdhsa_uses_dynamic_stack 0
		.amdhsa_enable_private_segment 0
		.amdhsa_system_sgpr_workgroup_id_x 1
		.amdhsa_system_sgpr_workgroup_id_y 0
		.amdhsa_system_sgpr_workgroup_id_z 0
		.amdhsa_system_sgpr_workgroup_info 0
		.amdhsa_system_vgpr_workitem_id 0
		.amdhsa_next_free_vgpr 39
		.amdhsa_next_free_sgpr 16
		.amdhsa_reserve_vcc 1
		.amdhsa_float_round_mode_32 0
		.amdhsa_float_round_mode_16_64 0
		.amdhsa_float_denorm_mode_32 3
		.amdhsa_float_denorm_mode_16_64 3
		.amdhsa_dx10_clamp 1
		.amdhsa_ieee_mode 1
		.amdhsa_fp16_overflow 0
		.amdhsa_workgroup_processor_mode 1
		.amdhsa_memory_ordered 1
		.amdhsa_forward_progress 0
		.amdhsa_shared_vgpr_count 0
		.amdhsa_exception_fp_ieee_invalid_op 0
		.amdhsa_exception_fp_denorm_src 0
		.amdhsa_exception_fp_ieee_div_zero 0
		.amdhsa_exception_fp_ieee_overflow 0
		.amdhsa_exception_fp_ieee_underflow 0
		.amdhsa_exception_fp_ieee_inexact 0
		.amdhsa_exception_int_div_zero 0
	.end_amdhsa_kernel
	.section	.text._ZN9rocsparseL44gtsv_nopivot_strided_batch_pcr_shared_kernelILj128E21rocsparse_complex_numIfEEEviiiPKT0_S5_S5_PS3_,"axG",@progbits,_ZN9rocsparseL44gtsv_nopivot_strided_batch_pcr_shared_kernelILj128E21rocsparse_complex_numIfEEEviiiPKT0_S5_S5_PS3_,comdat
.Lfunc_end56:
	.size	_ZN9rocsparseL44gtsv_nopivot_strided_batch_pcr_shared_kernelILj128E21rocsparse_complex_numIfEEEviiiPKT0_S5_S5_PS3_, .Lfunc_end56-_ZN9rocsparseL44gtsv_nopivot_strided_batch_pcr_shared_kernelILj128E21rocsparse_complex_numIfEEEviiiPKT0_S5_S5_PS3_
                                        ; -- End function
	.section	.AMDGPU.csdata,"",@progbits
; Kernel info:
; codeLenInByte = 1744
; NumSgprs: 18
; NumVgprs: 39
; ScratchSize: 0
; MemoryBound: 0
; FloatMode: 240
; IeeeMode: 1
; LDSByteSize: 5120 bytes/workgroup (compile time only)
; SGPRBlocks: 2
; VGPRBlocks: 4
; NumSGPRsForWavesPerEU: 18
; NumVGPRsForWavesPerEU: 39
; Occupancy: 16
; WaveLimiterHint : 0
; COMPUTE_PGM_RSRC2:SCRATCH_EN: 0
; COMPUTE_PGM_RSRC2:USER_SGPR: 15
; COMPUTE_PGM_RSRC2:TRAP_HANDLER: 0
; COMPUTE_PGM_RSRC2:TGID_X_EN: 1
; COMPUTE_PGM_RSRC2:TGID_Y_EN: 0
; COMPUTE_PGM_RSRC2:TGID_Z_EN: 0
; COMPUTE_PGM_RSRC2:TIDIG_COMP_CNT: 0
	.section	.text._ZN9rocsparseL44gtsv_nopivot_strided_batch_pcr_shared_kernelILj256E21rocsparse_complex_numIfEEEviiiPKT0_S5_S5_PS3_,"axG",@progbits,_ZN9rocsparseL44gtsv_nopivot_strided_batch_pcr_shared_kernelILj256E21rocsparse_complex_numIfEEEviiiPKT0_S5_S5_PS3_,comdat
	.globl	_ZN9rocsparseL44gtsv_nopivot_strided_batch_pcr_shared_kernelILj256E21rocsparse_complex_numIfEEEviiiPKT0_S5_S5_PS3_ ; -- Begin function _ZN9rocsparseL44gtsv_nopivot_strided_batch_pcr_shared_kernelILj256E21rocsparse_complex_numIfEEEviiiPKT0_S5_S5_PS3_
	.p2align	8
	.type	_ZN9rocsparseL44gtsv_nopivot_strided_batch_pcr_shared_kernelILj256E21rocsparse_complex_numIfEEEviiiPKT0_S5_S5_PS3_,@function
_ZN9rocsparseL44gtsv_nopivot_strided_batch_pcr_shared_kernelILj256E21rocsparse_complex_numIfEEEviiiPKT0_S5_S5_PS3_: ; @_ZN9rocsparseL44gtsv_nopivot_strided_batch_pcr_shared_kernelILj256E21rocsparse_complex_numIfEEEviiiPKT0_S5_S5_PS3_
; %bb.0:
	s_clause 0x1
	s_load_b32 s2, s[0:1], 0x8
	s_load_b32 s3, s[0:1], 0x0
	v_dual_mov_b32 v3, 0 :: v_dual_mov_b32 v6, 0
	v_mov_b32_e32 v5, 0
	s_waitcnt lgkmcnt(0)
	v_mad_u64_u32 v[1:2], null, s15, s2, v[0:1]
	v_cmp_gt_i32_e64 s2, s3, v0
	s_delay_alu instid0(VALU_DEP_2) | instskip(NEXT) | instid1(VALU_DEP_2)
	v_ashrrev_i32_e32 v2, 31, v1
	s_and_saveexec_b32 s4, s2
	s_cbranch_execz .LBB57_2
; %bb.1:
	s_load_b64 s[6:7], s[0:1], 0x10
	s_delay_alu instid0(VALU_DEP_1) | instskip(SKIP_1) | instid1(VALU_DEP_1)
	v_lshlrev_b64 v[4:5], 3, v[1:2]
	s_waitcnt lgkmcnt(0)
	v_add_co_u32 v4, vcc_lo, s6, v4
	s_delay_alu instid0(VALU_DEP_2)
	v_add_co_ci_u32_e32 v5, vcc_lo, s7, v5, vcc_lo
	global_load_b64 v[5:6], v[4:5], off
.LBB57_2:
	s_or_b32 exec_lo, exec_lo, s4
	v_dual_mov_b32 v4, 0 :: v_dual_lshlrev_b32 v9, 3, v0
	s_waitcnt vmcnt(0)
	ds_store_b64 v9, v[5:6]
	s_and_saveexec_b32 s4, s2
	s_cbranch_execz .LBB57_4
; %bb.3:
	s_load_b64 s[6:7], s[0:1], 0x18
	v_lshlrev_b64 v[3:4], 3, v[1:2]
	s_waitcnt lgkmcnt(0)
	s_delay_alu instid0(VALU_DEP_1) | instskip(NEXT) | instid1(VALU_DEP_2)
	v_add_co_u32 v3, vcc_lo, s6, v3
	v_add_co_ci_u32_e32 v4, vcc_lo, s7, v4, vcc_lo
	global_load_b64 v[3:4], v[3:4], off
.LBB57_4:
	s_or_b32 exec_lo, exec_lo, s4
	s_load_b64 s[4:5], s[0:1], 0x28
	v_dual_mov_b32 v5, 0 :: v_dual_mov_b32 v8, 0
	v_mov_b32_e32 v7, 0
	s_waitcnt vmcnt(0)
	ds_store_b64 v9, v[3:4] offset:2048
	s_and_saveexec_b32 s6, s2
	s_cbranch_execz .LBB57_6
; %bb.5:
	s_load_b64 s[0:1], s[0:1], 0x20
	v_lshlrev_b64 v[3:4], 3, v[1:2]
	s_waitcnt lgkmcnt(0)
	s_delay_alu instid0(VALU_DEP_1) | instskip(NEXT) | instid1(VALU_DEP_2)
	v_add_co_u32 v3, vcc_lo, s0, v3
	v_add_co_ci_u32_e32 v4, vcc_lo, s1, v4, vcc_lo
	global_load_b64 v[7:8], v[3:4], off
.LBB57_6:
	s_or_b32 exec_lo, exec_lo, s6
	v_mov_b32_e32 v6, 0
	s_waitcnt vmcnt(0)
	ds_store_b64 v9, v[7:8] offset:4096
	s_and_saveexec_b32 s0, s2
	s_cbranch_execz .LBB57_8
; %bb.7:
	v_lshlrev_b64 v[3:4], 3, v[1:2]
	s_waitcnt lgkmcnt(0)
	s_delay_alu instid0(VALU_DEP_1) | instskip(NEXT) | instid1(VALU_DEP_2)
	v_add_co_u32 v3, vcc_lo, s4, v3
	v_add_co_ci_u32_e32 v4, vcc_lo, s5, v4, vcc_lo
	global_load_b64 v[5:6], v[3:4], off
.LBB57_8:
	s_or_b32 exec_lo, exec_lo, s0
	v_or_b32_e32 v10, 0x800, v9
	v_or_b32_e32 v8, 0x1000, v9
	;; [unrolled: 1-line block ×3, first 2 shown]
	s_add_i32 s1, s3, -1
	s_mov_b32 s6, 1
	s_mov_b32 s7, 7
	s_waitcnt vmcnt(0)
	ds_store_b64 v9, v[5:6] offset:8192
	s_waitcnt lgkmcnt(0)
	s_barrier
	buffer_gl0_inv
.LBB57_9:                               ; =>This Inner Loop Header: Depth=1
	ds_load_b64 v[23:24], v9
	ds_load_b64 v[25:26], v7
	ds_load_b64 v[27:28], v8
	ds_load_b64 v[29:30], v10
	v_add_nc_u32_e32 v3, s6, v0
	v_subrev_nc_u32_e32 v4, s6, v0
	s_add_i32 s7, s7, -1
	s_lshl_b32 s6, s6, 1
	s_cmp_eq_u32 s7, 0
	v_cmp_gt_i32_e32 vcc_lo, s3, v3
	v_max_i32_e32 v4, 0, v4
	v_cndmask_b32_e32 v3, s1, v3, vcc_lo
	s_delay_alu instid0(VALU_DEP_2) | instskip(NEXT) | instid1(VALU_DEP_2)
	v_lshlrev_b32_e32 v15, 3, v4
	v_lshlrev_b32_e32 v19, 3, v3
	ds_load_2addr_stride64_b64 v[3:6], v15 offset1:4
	ds_load_2addr_stride64_b64 v[11:14], v19 offset1:4
	ds_load_2addr_stride64_b64 v[15:18], v15 offset0:8 offset1:16
	ds_load_2addr_stride64_b64 v[19:22], v19 offset0:8 offset1:16
	s_waitcnt lgkmcnt(0)
	s_barrier
	buffer_gl0_inv
	v_mul_f32_e32 v32, v6, v24
	v_mul_f32_e32 v34, v14, v28
	;; [unrolled: 1-line block ×3, first 2 shown]
	v_mul_f32_e64 v14, v14, -v27
	v_mul_f32_e32 v31, v6, v6
	v_mul_f32_e64 v6, v6, -v23
	v_fmac_f32_e32 v34, v27, v13
	v_fmac_f32_e32 v32, v23, v5
	;; [unrolled: 1-line block ×5, first 2 shown]
	s_delay_alu instid0(VALU_DEP_2) | instskip(SKIP_1) | instid1(VALU_DEP_2)
	v_div_scale_f32 v23, null, v33, v33, 1.0
	v_div_scale_f32 v24, s0, 1.0, v33, 1.0
	v_rcp_f32_e32 v28, v23
	s_waitcnt_depctr 0xfff
	v_fma_f32 v36, -v23, v28, 1.0
	s_delay_alu instid0(VALU_DEP_1) | instskip(NEXT) | instid1(VALU_DEP_1)
	v_dual_fmac_f32 v31, v5, v5 :: v_dual_fmac_f32 v28, v36, v28
	v_div_scale_f32 v5, null, v31, v31, 1.0
	v_div_scale_f32 v13, vcc_lo, 1.0, v31, 1.0
	s_delay_alu instid0(VALU_DEP_3) | instskip(NEXT) | instid1(VALU_DEP_3)
	v_mul_f32_e32 v36, v24, v28
	v_rcp_f32_e32 v27, v5
	s_delay_alu instid0(VALU_DEP_1) | instskip(NEXT) | instid1(VALU_DEP_1)
	v_fma_f32 v38, -v23, v36, v24
	v_fmac_f32_e32 v36, v38, v28
	s_waitcnt_depctr 0xfff
	v_fma_f32 v35, -v5, v27, 1.0
	s_delay_alu instid0(VALU_DEP_1) | instskip(NEXT) | instid1(VALU_DEP_1)
	v_fmac_f32_e32 v27, v35, v27
	v_mul_f32_e32 v35, v13, v27
	s_delay_alu instid0(VALU_DEP_1) | instskip(NEXT) | instid1(VALU_DEP_1)
	v_fma_f32 v37, -v5, v35, v13
	v_fmac_f32_e32 v35, v37, v27
	s_delay_alu instid0(VALU_DEP_1) | instskip(SKIP_1) | instid1(VALU_DEP_2)
	v_fma_f32 v5, -v5, v35, v13
	v_fma_f32 v13, -v23, v36, v24
	v_div_fmas_f32 v5, v5, v27, v35
	s_mov_b32 vcc_lo, s0
	s_delay_alu instid0(VALU_DEP_2) | instskip(NEXT) | instid1(VALU_DEP_2)
	v_div_fmas_f32 v13, v13, v28, v36
	v_div_fixup_f32 v5, v5, v31, 1.0
	s_delay_alu instid0(VALU_DEP_2) | instskip(NEXT) | instid1(VALU_DEP_2)
	v_div_fixup_f32 v13, v13, v33, 1.0
	v_dual_mul_f32 v6, v6, v5 :: v_dual_mul_f32 v5, v5, v32
	s_delay_alu instid0(VALU_DEP_1) | instskip(SKIP_3) | instid1(VALU_DEP_4)
	v_dual_mul_f32 v24, v6, v15 :: v_dual_mul_f32 v23, v13, v34
	v_mul_f32_e32 v13, v14, v13
	v_mul_f32_e64 v14, v6, -v16
	v_mul_f32_e32 v28, v6, v17
	v_dual_mul_f32 v31, v6, v4 :: v_dual_fmac_f32 v24, v16, v5
	s_delay_alu instid0(VALU_DEP_4) | instskip(NEXT) | instid1(VALU_DEP_4)
	v_mul_f32_e64 v32, v13, -v12
	v_fmac_f32_e32 v14, v15, v5
	v_mul_f32_e64 v27, v6, -v18
	v_fmac_f32_e32 v28, v18, v5
	;; [unrolled: 2-line block ×3, first 2 shown]
	v_mul_f32_e32 v33, v13, v11
	v_mul_f32_e32 v35, v13, v21
	;; [unrolled: 1-line block ×3, first 2 shown]
	v_mul_f32_e64 v34, v13, -v22
	v_mul_f32_e64 v13, v13, -v19
	v_dual_fmac_f32 v33, v12, v23 :: v_dual_sub_f32 v12, v30, v24
	v_fmac_f32_e32 v27, v17, v5
	v_fmac_f32_e32 v35, v22, v23
	v_fma_f32 v4, -v4, v5, v6
	v_fma_f32 v6, -v20, v23, v13
	v_dual_sub_f32 v12, v12, v33 :: v_dual_sub_f32 v11, v29, v14
	v_dual_sub_f32 v14, v26, v28 :: v_dual_sub_f32 v13, v25, v27
	v_fma_f32 v3, -v3, v5, v31
	v_fma_f32 v5, -v19, v23, v36
	s_delay_alu instid0(VALU_DEP_3) | instskip(SKIP_1) | instid1(VALU_DEP_1)
	v_sub_f32_e32 v14, v14, v35
	v_dual_fmac_f32 v34, v21, v23 :: v_dual_sub_f32 v11, v11, v32
	v_sub_f32_e32 v13, v13, v34
	ds_store_b64 v10, v[11:12]
	ds_store_b64 v9, v[3:4]
	;; [unrolled: 1-line block ×4, first 2 shown]
	s_waitcnt lgkmcnt(0)
	s_barrier
	buffer_gl0_inv
	s_cbranch_scc0 .LBB57_9
; %bb.10:
	s_mov_b32 s0, exec_lo
	v_cmpx_gt_u32_e32 0x80, v0
	s_cbranch_execz .LBB57_16
; %bb.11:
	v_or_b32_e32 v5, 0x80, v0
	s_mov_b32 s1, exec_lo
                                        ; implicit-def: $vgpr4
	s_delay_alu instid0(VALU_DEP_1)
	v_cmpx_le_i32_e64 s3, v5
	s_xor_b32 s1, exec_lo, s1
	s_cbranch_execz .LBB57_13
; %bb.12:
	ds_load_b64 v[3:4], v10
	s_waitcnt lgkmcnt(0)
	v_mul_f32_e32 v8, v4, v4
	s_delay_alu instid0(VALU_DEP_1) | instskip(NEXT) | instid1(VALU_DEP_1)
	v_fmac_f32_e32 v8, v3, v3
	v_div_scale_f32 v10, null, v8, v8, 1.0
	v_div_scale_f32 v12, vcc_lo, 1.0, v8, 1.0
	s_delay_alu instid0(VALU_DEP_2) | instskip(SKIP_2) | instid1(VALU_DEP_1)
	v_rcp_f32_e32 v11, v10
	s_waitcnt_depctr 0xfff
	v_fma_f32 v5, -v10, v11, 1.0
	v_fmac_f32_e32 v11, v5, v11
	ds_load_b64 v[5:6], v7
	v_mul_f32_e32 v7, v12, v11
	s_delay_alu instid0(VALU_DEP_1) | instskip(NEXT) | instid1(VALU_DEP_1)
	v_fma_f32 v13, -v10, v7, v12
	v_fmac_f32_e32 v7, v13, v11
	s_delay_alu instid0(VALU_DEP_1) | instskip(SKIP_3) | instid1(VALU_DEP_3)
	v_fma_f32 v10, -v10, v7, v12
	s_waitcnt lgkmcnt(0)
	v_mul_f32_e32 v12, v4, v6
	v_mul_f32_e64 v4, v4, -v5
	v_div_fmas_f32 v7, v10, v11, v7
	s_delay_alu instid0(VALU_DEP_3) | instskip(NEXT) | instid1(VALU_DEP_3)
	v_fmac_f32_e32 v12, v5, v3
	v_fmac_f32_e32 v4, v6, v3
                                        ; implicit-def: $vgpr10
	s_delay_alu instid0(VALU_DEP_3) | instskip(NEXT) | instid1(VALU_DEP_1)
	v_div_fixup_f32 v5, v7, v8, 1.0
                                        ; implicit-def: $vgpr8
                                        ; implicit-def: $vgpr7
	v_dual_mul_f32 v3, v5, v12 :: v_dual_mul_f32 v4, v4, v5
                                        ; implicit-def: $vgpr5
.LBB57_13:
	s_and_not1_saveexec_b32 s1, s1
	s_cbranch_execz .LBB57_15
; %bb.14:
	ds_load_2addr_stride64_b64 v[10:13], v10 offset1:2
	ds_load_b64 v[3:4], v8
	ds_load_b64 v[18:19], v9 offset:1024
	s_waitcnt lgkmcnt(2)
	v_mul_f32_e32 v0, v11, v12
	v_mul_f32_e64 v8, v11, -v13
	s_waitcnt lgkmcnt(0)
	v_mul_f32_e32 v6, v19, v3
	v_mul_f32_e64 v14, v19, -v4
	v_fmac_f32_e32 v0, v13, v10
	v_fmac_f32_e32 v8, v12, v10
	s_delay_alu instid0(VALU_DEP_4) | instskip(NEXT) | instid1(VALU_DEP_4)
	v_fmac_f32_e32 v6, v4, v18
	v_fmac_f32_e32 v14, v3, v18
	s_delay_alu instid0(VALU_DEP_2) | instskip(NEXT) | instid1(VALU_DEP_2)
	v_sub_f32_e32 v0, v0, v6
	v_sub_f32_e32 v6, v8, v14
	ds_load_2addr_stride64_b64 v[14:17], v7 offset1:2
	s_waitcnt lgkmcnt(0)
	v_mul_f32_e64 v28, v11, -v17
	v_mul_f32_e32 v11, v11, v16
	v_mul_f32_e32 v8, v0, v0
	v_mul_f32_e64 v23, v15, -v13
	v_mul_f32_e32 v25, v15, v12
	v_mul_f32_e64 v26, v17, -v4
	s_delay_alu instid0(VALU_DEP_4) | instskip(NEXT) | instid1(VALU_DEP_2)
	v_dual_mul_f32 v27, v17, v3 :: v_dual_fmac_f32 v8, v6, v6
	v_dual_fmac_f32 v23, v12, v14 :: v_dual_fmac_f32 v26, v3, v16
	s_delay_alu instid0(VALU_DEP_2) | instskip(NEXT) | instid1(VALU_DEP_3)
	v_fmac_f32_e32 v27, v4, v16
	v_div_scale_f32 v20, null, v8, v8, 1.0
	v_div_scale_f32 v22, vcc_lo, 1.0, v8, 1.0
	s_delay_alu instid0(VALU_DEP_2) | instskip(SKIP_2) | instid1(VALU_DEP_1)
	v_rcp_f32_e32 v21, v20
	s_waitcnt_depctr 0xfff
	v_fma_f32 v7, -v20, v21, 1.0
	v_fmac_f32_e32 v21, v7, v21
	s_delay_alu instid0(VALU_DEP_1) | instskip(NEXT) | instid1(VALU_DEP_1)
	v_mul_f32_e32 v7, v22, v21
	v_fma_f32 v24, -v20, v7, v22
	s_delay_alu instid0(VALU_DEP_1) | instskip(SKIP_2) | instid1(VALU_DEP_3)
	v_fmac_f32_e32 v7, v24, v21
	v_mul_f32_e64 v24, v19, -v15
	v_mul_f32_e32 v19, v19, v14
	v_fma_f32 v12, -v20, v7, v22
	s_delay_alu instid0(VALU_DEP_3) | instskip(SKIP_1) | instid1(VALU_DEP_4)
	v_fmac_f32_e32 v24, v14, v18
	v_fmac_f32_e32 v11, v17, v10
	;; [unrolled: 1-line block ×3, first 2 shown]
	s_delay_alu instid0(VALU_DEP_4) | instskip(NEXT) | instid1(VALU_DEP_2)
	v_div_fmas_f32 v3, v12, v21, v7
	v_sub_f32_e32 v11, v11, v19
	v_fma_f32 v4, v6, 0, -v0
	s_delay_alu instid0(VALU_DEP_3) | instskip(SKIP_2) | instid1(VALU_DEP_3)
	v_div_fixup_f32 v3, v3, v8, 1.0
	v_fmac_f32_e32 v25, v13, v14
	v_fma_f32 v0, 0, v0, v6
	v_mul_f32_e32 v4, v4, v3
	v_fmac_f32_e32 v28, v16, v10
	v_sub_f32_e32 v10, v23, v26
	v_sub_f32_e32 v8, v25, v27
	v_mul_f32_e32 v0, v0, v3
	v_mul_f32_e64 v3, v4, -v11
	s_delay_alu instid0(VALU_DEP_4) | instskip(NEXT) | instid1(VALU_DEP_4)
	v_mul_f32_e32 v7, v10, v4
	v_mul_f32_e64 v6, v4, -v8
	s_delay_alu instid0(VALU_DEP_2) | instskip(SKIP_1) | instid1(VALU_DEP_3)
	v_fmac_f32_e32 v7, v8, v0
	v_sub_f32_e32 v12, v28, v24
	v_fmac_f32_e32 v6, v10, v0
	s_delay_alu instid0(VALU_DEP_2)
	v_mul_f32_e32 v4, v4, v12
	v_fmac_f32_e32 v3, v12, v0
	ds_store_b64 v9, v[6:7] offset:6144
	v_fmac_f32_e32 v4, v11, v0
	v_mov_b32_e32 v0, v5
.LBB57_15:
	s_or_b32 exec_lo, exec_lo, s1
	s_delay_alu instid0(VALU_DEP_1)
	v_lshlrev_b32_e32 v0, 3, v0
	ds_store_b64 v0, v[3:4] offset:6144
.LBB57_16:
	s_or_b32 exec_lo, exec_lo, s0
	s_waitcnt lgkmcnt(0)
	s_barrier
	buffer_gl0_inv
	s_and_saveexec_b32 s0, s2
	s_cbranch_execz .LBB57_18
; %bb.17:
	ds_load_b64 v[3:4], v9 offset:6144
	v_lshlrev_b64 v[0:1], 3, v[1:2]
	s_delay_alu instid0(VALU_DEP_1) | instskip(NEXT) | instid1(VALU_DEP_2)
	v_add_co_u32 v0, vcc_lo, s4, v0
	v_add_co_ci_u32_e32 v1, vcc_lo, s5, v1, vcc_lo
	s_waitcnt lgkmcnt(0)
	global_store_b64 v[0:1], v[3:4], off
.LBB57_18:
	s_nop 0
	s_sendmsg sendmsg(MSG_DEALLOC_VGPRS)
	s_endpgm
	.section	.rodata,"a",@progbits
	.p2align	6, 0x0
	.amdhsa_kernel _ZN9rocsparseL44gtsv_nopivot_strided_batch_pcr_shared_kernelILj256E21rocsparse_complex_numIfEEEviiiPKT0_S5_S5_PS3_
		.amdhsa_group_segment_fixed_size 10240
		.amdhsa_private_segment_fixed_size 0
		.amdhsa_kernarg_size 48
		.amdhsa_user_sgpr_count 15
		.amdhsa_user_sgpr_dispatch_ptr 0
		.amdhsa_user_sgpr_queue_ptr 0
		.amdhsa_user_sgpr_kernarg_segment_ptr 1
		.amdhsa_user_sgpr_dispatch_id 0
		.amdhsa_user_sgpr_private_segment_size 0
		.amdhsa_wavefront_size32 1
		.amdhsa_uses_dynamic_stack 0
		.amdhsa_enable_private_segment 0
		.amdhsa_system_sgpr_workgroup_id_x 1
		.amdhsa_system_sgpr_workgroup_id_y 0
		.amdhsa_system_sgpr_workgroup_id_z 0
		.amdhsa_system_sgpr_workgroup_info 0
		.amdhsa_system_vgpr_workitem_id 0
		.amdhsa_next_free_vgpr 39
		.amdhsa_next_free_sgpr 16
		.amdhsa_reserve_vcc 1
		.amdhsa_float_round_mode_32 0
		.amdhsa_float_round_mode_16_64 0
		.amdhsa_float_denorm_mode_32 3
		.amdhsa_float_denorm_mode_16_64 3
		.amdhsa_dx10_clamp 1
		.amdhsa_ieee_mode 1
		.amdhsa_fp16_overflow 0
		.amdhsa_workgroup_processor_mode 1
		.amdhsa_memory_ordered 1
		.amdhsa_forward_progress 0
		.amdhsa_shared_vgpr_count 0
		.amdhsa_exception_fp_ieee_invalid_op 0
		.amdhsa_exception_fp_denorm_src 0
		.amdhsa_exception_fp_ieee_div_zero 0
		.amdhsa_exception_fp_ieee_overflow 0
		.amdhsa_exception_fp_ieee_underflow 0
		.amdhsa_exception_fp_ieee_inexact 0
		.amdhsa_exception_int_div_zero 0
	.end_amdhsa_kernel
	.section	.text._ZN9rocsparseL44gtsv_nopivot_strided_batch_pcr_shared_kernelILj256E21rocsparse_complex_numIfEEEviiiPKT0_S5_S5_PS3_,"axG",@progbits,_ZN9rocsparseL44gtsv_nopivot_strided_batch_pcr_shared_kernelILj256E21rocsparse_complex_numIfEEEviiiPKT0_S5_S5_PS3_,comdat
.Lfunc_end57:
	.size	_ZN9rocsparseL44gtsv_nopivot_strided_batch_pcr_shared_kernelILj256E21rocsparse_complex_numIfEEEviiiPKT0_S5_S5_PS3_, .Lfunc_end57-_ZN9rocsparseL44gtsv_nopivot_strided_batch_pcr_shared_kernelILj256E21rocsparse_complex_numIfEEEviiiPKT0_S5_S5_PS3_
                                        ; -- End function
	.section	.AMDGPU.csdata,"",@progbits
; Kernel info:
; codeLenInByte = 1752
; NumSgprs: 18
; NumVgprs: 39
; ScratchSize: 0
; MemoryBound: 0
; FloatMode: 240
; IeeeMode: 1
; LDSByteSize: 10240 bytes/workgroup (compile time only)
; SGPRBlocks: 2
; VGPRBlocks: 4
; NumSGPRsForWavesPerEU: 18
; NumVGPRsForWavesPerEU: 39
; Occupancy: 16
; WaveLimiterHint : 0
; COMPUTE_PGM_RSRC2:SCRATCH_EN: 0
; COMPUTE_PGM_RSRC2:USER_SGPR: 15
; COMPUTE_PGM_RSRC2:TRAP_HANDLER: 0
; COMPUTE_PGM_RSRC2:TGID_X_EN: 1
; COMPUTE_PGM_RSRC2:TGID_Y_EN: 0
; COMPUTE_PGM_RSRC2:TGID_Z_EN: 0
; COMPUTE_PGM_RSRC2:TIDIG_COMP_CNT: 0
	.section	.text._ZN9rocsparseL44gtsv_nopivot_strided_batch_pcr_shared_kernelILj512E21rocsparse_complex_numIfEEEviiiPKT0_S5_S5_PS3_,"axG",@progbits,_ZN9rocsparseL44gtsv_nopivot_strided_batch_pcr_shared_kernelILj512E21rocsparse_complex_numIfEEEviiiPKT0_S5_S5_PS3_,comdat
	.globl	_ZN9rocsparseL44gtsv_nopivot_strided_batch_pcr_shared_kernelILj512E21rocsparse_complex_numIfEEEviiiPKT0_S5_S5_PS3_ ; -- Begin function _ZN9rocsparseL44gtsv_nopivot_strided_batch_pcr_shared_kernelILj512E21rocsparse_complex_numIfEEEviiiPKT0_S5_S5_PS3_
	.p2align	8
	.type	_ZN9rocsparseL44gtsv_nopivot_strided_batch_pcr_shared_kernelILj512E21rocsparse_complex_numIfEEEviiiPKT0_S5_S5_PS3_,@function
_ZN9rocsparseL44gtsv_nopivot_strided_batch_pcr_shared_kernelILj512E21rocsparse_complex_numIfEEEviiiPKT0_S5_S5_PS3_: ; @_ZN9rocsparseL44gtsv_nopivot_strided_batch_pcr_shared_kernelILj512E21rocsparse_complex_numIfEEEviiiPKT0_S5_S5_PS3_
; %bb.0:
	s_clause 0x1
	s_load_b32 s2, s[0:1], 0x8
	s_load_b32 s3, s[0:1], 0x0
	v_dual_mov_b32 v3, 0 :: v_dual_mov_b32 v6, 0
	v_mov_b32_e32 v5, 0
	s_waitcnt lgkmcnt(0)
	v_mad_u64_u32 v[1:2], null, s15, s2, v[0:1]
	v_cmp_gt_i32_e64 s2, s3, v0
	s_delay_alu instid0(VALU_DEP_2) | instskip(NEXT) | instid1(VALU_DEP_2)
	v_ashrrev_i32_e32 v2, 31, v1
	s_and_saveexec_b32 s4, s2
	s_cbranch_execz .LBB58_2
; %bb.1:
	s_load_b64 s[6:7], s[0:1], 0x10
	s_delay_alu instid0(VALU_DEP_1) | instskip(SKIP_1) | instid1(VALU_DEP_1)
	v_lshlrev_b64 v[4:5], 3, v[1:2]
	s_waitcnt lgkmcnt(0)
	v_add_co_u32 v4, vcc_lo, s6, v4
	s_delay_alu instid0(VALU_DEP_2)
	v_add_co_ci_u32_e32 v5, vcc_lo, s7, v5, vcc_lo
	global_load_b64 v[5:6], v[4:5], off
.LBB58_2:
	s_or_b32 exec_lo, exec_lo, s4
	v_dual_mov_b32 v4, 0 :: v_dual_lshlrev_b32 v9, 3, v0
	s_waitcnt vmcnt(0)
	ds_store_b64 v9, v[5:6]
	s_and_saveexec_b32 s4, s2
	s_cbranch_execz .LBB58_4
; %bb.3:
	s_load_b64 s[6:7], s[0:1], 0x18
	v_lshlrev_b64 v[3:4], 3, v[1:2]
	s_waitcnt lgkmcnt(0)
	s_delay_alu instid0(VALU_DEP_1) | instskip(NEXT) | instid1(VALU_DEP_2)
	v_add_co_u32 v3, vcc_lo, s6, v3
	v_add_co_ci_u32_e32 v4, vcc_lo, s7, v4, vcc_lo
	global_load_b64 v[3:4], v[3:4], off
.LBB58_4:
	s_or_b32 exec_lo, exec_lo, s4
	s_load_b64 s[4:5], s[0:1], 0x28
	v_dual_mov_b32 v5, 0 :: v_dual_mov_b32 v8, 0
	v_mov_b32_e32 v7, 0
	s_waitcnt vmcnt(0)
	ds_store_b64 v9, v[3:4] offset:4096
	s_and_saveexec_b32 s6, s2
	s_cbranch_execz .LBB58_6
; %bb.5:
	s_load_b64 s[0:1], s[0:1], 0x20
	v_lshlrev_b64 v[3:4], 3, v[1:2]
	s_waitcnt lgkmcnt(0)
	s_delay_alu instid0(VALU_DEP_1) | instskip(NEXT) | instid1(VALU_DEP_2)
	v_add_co_u32 v3, vcc_lo, s0, v3
	v_add_co_ci_u32_e32 v4, vcc_lo, s1, v4, vcc_lo
	global_load_b64 v[7:8], v[3:4], off
.LBB58_6:
	s_or_b32 exec_lo, exec_lo, s6
	v_mov_b32_e32 v6, 0
	s_waitcnt vmcnt(0)
	ds_store_b64 v9, v[7:8] offset:8192
	s_and_saveexec_b32 s0, s2
	s_cbranch_execz .LBB58_8
; %bb.7:
	v_lshlrev_b64 v[3:4], 3, v[1:2]
	s_waitcnt lgkmcnt(0)
	s_delay_alu instid0(VALU_DEP_1) | instskip(NEXT) | instid1(VALU_DEP_2)
	v_add_co_u32 v3, vcc_lo, s4, v3
	v_add_co_ci_u32_e32 v4, vcc_lo, s5, v4, vcc_lo
	global_load_b64 v[5:6], v[3:4], off
.LBB58_8:
	s_or_b32 exec_lo, exec_lo, s0
	v_or_b32_e32 v10, 0x1000, v9
	v_or_b32_e32 v8, 0x2000, v9
	;; [unrolled: 1-line block ×3, first 2 shown]
	s_add_i32 s1, s3, -1
	s_mov_b32 s6, 1
	s_mov_b32 s7, 8
	s_waitcnt vmcnt(0)
	ds_store_b64 v9, v[5:6] offset:16384
	s_waitcnt lgkmcnt(0)
	s_barrier
	buffer_gl0_inv
.LBB58_9:                               ; =>This Inner Loop Header: Depth=1
	ds_load_b64 v[23:24], v9
	ds_load_b64 v[25:26], v7
	;; [unrolled: 1-line block ×4, first 2 shown]
	v_add_nc_u32_e32 v3, s6, v0
	v_subrev_nc_u32_e32 v4, s6, v0
	s_add_i32 s7, s7, -1
	s_lshl_b32 s6, s6, 1
	s_cmp_eq_u32 s7, 0
	v_cmp_gt_i32_e32 vcc_lo, s3, v3
	v_max_i32_e32 v4, 0, v4
	v_cndmask_b32_e32 v3, s1, v3, vcc_lo
	s_delay_alu instid0(VALU_DEP_2) | instskip(NEXT) | instid1(VALU_DEP_2)
	v_lshlrev_b32_e32 v15, 3, v4
	v_lshlrev_b32_e32 v19, 3, v3
	ds_load_2addr_stride64_b64 v[3:6], v15 offset1:8
	ds_load_2addr_stride64_b64 v[11:14], v19 offset1:8
	ds_load_2addr_stride64_b64 v[15:18], v15 offset0:16 offset1:32
	ds_load_2addr_stride64_b64 v[19:22], v19 offset0:16 offset1:32
	s_waitcnt lgkmcnt(0)
	s_barrier
	buffer_gl0_inv
	v_mul_f32_e32 v32, v6, v24
	v_mul_f32_e32 v34, v14, v28
	;; [unrolled: 1-line block ×3, first 2 shown]
	v_mul_f32_e64 v14, v14, -v27
	v_mul_f32_e32 v31, v6, v6
	v_mul_f32_e64 v6, v6, -v23
	v_fmac_f32_e32 v34, v27, v13
	v_fmac_f32_e32 v32, v23, v5
	;; [unrolled: 1-line block ×5, first 2 shown]
	s_delay_alu instid0(VALU_DEP_2) | instskip(SKIP_1) | instid1(VALU_DEP_2)
	v_div_scale_f32 v23, null, v33, v33, 1.0
	v_div_scale_f32 v24, s0, 1.0, v33, 1.0
	v_rcp_f32_e32 v28, v23
	s_waitcnt_depctr 0xfff
	v_fma_f32 v36, -v23, v28, 1.0
	s_delay_alu instid0(VALU_DEP_1) | instskip(NEXT) | instid1(VALU_DEP_1)
	v_dual_fmac_f32 v31, v5, v5 :: v_dual_fmac_f32 v28, v36, v28
	v_div_scale_f32 v5, null, v31, v31, 1.0
	v_div_scale_f32 v13, vcc_lo, 1.0, v31, 1.0
	s_delay_alu instid0(VALU_DEP_3) | instskip(NEXT) | instid1(VALU_DEP_3)
	v_mul_f32_e32 v36, v24, v28
	v_rcp_f32_e32 v27, v5
	s_delay_alu instid0(VALU_DEP_1) | instskip(NEXT) | instid1(VALU_DEP_1)
	v_fma_f32 v38, -v23, v36, v24
	v_fmac_f32_e32 v36, v38, v28
	s_waitcnt_depctr 0xfff
	v_fma_f32 v35, -v5, v27, 1.0
	s_delay_alu instid0(VALU_DEP_1) | instskip(NEXT) | instid1(VALU_DEP_1)
	v_fmac_f32_e32 v27, v35, v27
	v_mul_f32_e32 v35, v13, v27
	s_delay_alu instid0(VALU_DEP_1) | instskip(NEXT) | instid1(VALU_DEP_1)
	v_fma_f32 v37, -v5, v35, v13
	v_fmac_f32_e32 v35, v37, v27
	s_delay_alu instid0(VALU_DEP_1) | instskip(SKIP_1) | instid1(VALU_DEP_2)
	v_fma_f32 v5, -v5, v35, v13
	v_fma_f32 v13, -v23, v36, v24
	v_div_fmas_f32 v5, v5, v27, v35
	s_mov_b32 vcc_lo, s0
	s_delay_alu instid0(VALU_DEP_2) | instskip(NEXT) | instid1(VALU_DEP_2)
	v_div_fmas_f32 v13, v13, v28, v36
	v_div_fixup_f32 v5, v5, v31, 1.0
	s_delay_alu instid0(VALU_DEP_2) | instskip(NEXT) | instid1(VALU_DEP_2)
	v_div_fixup_f32 v13, v13, v33, 1.0
	v_dual_mul_f32 v6, v6, v5 :: v_dual_mul_f32 v5, v5, v32
	s_delay_alu instid0(VALU_DEP_1) | instskip(SKIP_3) | instid1(VALU_DEP_4)
	v_dual_mul_f32 v24, v6, v15 :: v_dual_mul_f32 v23, v13, v34
	v_mul_f32_e32 v13, v14, v13
	v_mul_f32_e64 v14, v6, -v16
	v_mul_f32_e32 v28, v6, v17
	v_dual_mul_f32 v31, v6, v4 :: v_dual_fmac_f32 v24, v16, v5
	s_delay_alu instid0(VALU_DEP_4) | instskip(NEXT) | instid1(VALU_DEP_4)
	v_mul_f32_e64 v32, v13, -v12
	v_fmac_f32_e32 v14, v15, v5
	v_mul_f32_e64 v27, v6, -v18
	v_fmac_f32_e32 v28, v18, v5
	;; [unrolled: 2-line block ×3, first 2 shown]
	v_mul_f32_e32 v33, v13, v11
	v_mul_f32_e32 v35, v13, v21
	;; [unrolled: 1-line block ×3, first 2 shown]
	v_mul_f32_e64 v34, v13, -v22
	v_mul_f32_e64 v13, v13, -v19
	v_dual_fmac_f32 v33, v12, v23 :: v_dual_sub_f32 v12, v30, v24
	v_fmac_f32_e32 v27, v17, v5
	v_fmac_f32_e32 v35, v22, v23
	v_fma_f32 v4, -v4, v5, v6
	v_fma_f32 v6, -v20, v23, v13
	v_dual_sub_f32 v12, v12, v33 :: v_dual_sub_f32 v11, v29, v14
	v_dual_sub_f32 v14, v26, v28 :: v_dual_sub_f32 v13, v25, v27
	v_fma_f32 v3, -v3, v5, v31
	v_fma_f32 v5, -v19, v23, v36
	s_delay_alu instid0(VALU_DEP_3) | instskip(SKIP_1) | instid1(VALU_DEP_1)
	v_sub_f32_e32 v14, v14, v35
	v_dual_fmac_f32 v34, v21, v23 :: v_dual_sub_f32 v11, v11, v32
	v_sub_f32_e32 v13, v13, v34
	ds_store_b64 v10, v[11:12]
	ds_store_b64 v9, v[3:4]
	;; [unrolled: 1-line block ×4, first 2 shown]
	s_waitcnt lgkmcnt(0)
	s_barrier
	buffer_gl0_inv
	s_cbranch_scc0 .LBB58_9
; %bb.10:
	s_mov_b32 s0, exec_lo
	v_cmpx_gt_u32_e32 0x100, v0
	s_cbranch_execz .LBB58_16
; %bb.11:
	v_or_b32_e32 v5, 0x100, v0
	s_mov_b32 s1, exec_lo
                                        ; implicit-def: $vgpr4
	s_delay_alu instid0(VALU_DEP_1)
	v_cmpx_le_i32_e64 s3, v5
	s_xor_b32 s1, exec_lo, s1
	s_cbranch_execz .LBB58_13
; %bb.12:
	ds_load_b64 v[3:4], v10
	s_waitcnt lgkmcnt(0)
	v_mul_f32_e32 v8, v4, v4
	s_delay_alu instid0(VALU_DEP_1) | instskip(NEXT) | instid1(VALU_DEP_1)
	v_fmac_f32_e32 v8, v3, v3
	v_div_scale_f32 v10, null, v8, v8, 1.0
	v_div_scale_f32 v12, vcc_lo, 1.0, v8, 1.0
	s_delay_alu instid0(VALU_DEP_2) | instskip(SKIP_2) | instid1(VALU_DEP_1)
	v_rcp_f32_e32 v11, v10
	s_waitcnt_depctr 0xfff
	v_fma_f32 v5, -v10, v11, 1.0
	v_fmac_f32_e32 v11, v5, v11
	ds_load_b64 v[5:6], v7
	v_mul_f32_e32 v7, v12, v11
	s_delay_alu instid0(VALU_DEP_1) | instskip(NEXT) | instid1(VALU_DEP_1)
	v_fma_f32 v13, -v10, v7, v12
	v_fmac_f32_e32 v7, v13, v11
	s_delay_alu instid0(VALU_DEP_1) | instskip(SKIP_3) | instid1(VALU_DEP_3)
	v_fma_f32 v10, -v10, v7, v12
	s_waitcnt lgkmcnt(0)
	v_mul_f32_e32 v12, v4, v6
	v_mul_f32_e64 v4, v4, -v5
	v_div_fmas_f32 v7, v10, v11, v7
	s_delay_alu instid0(VALU_DEP_3) | instskip(NEXT) | instid1(VALU_DEP_3)
	v_fmac_f32_e32 v12, v5, v3
	v_fmac_f32_e32 v4, v6, v3
                                        ; implicit-def: $vgpr10
	s_delay_alu instid0(VALU_DEP_3) | instskip(NEXT) | instid1(VALU_DEP_1)
	v_div_fixup_f32 v5, v7, v8, 1.0
                                        ; implicit-def: $vgpr8
                                        ; implicit-def: $vgpr7
	v_dual_mul_f32 v3, v5, v12 :: v_dual_mul_f32 v4, v4, v5
                                        ; implicit-def: $vgpr5
.LBB58_13:
	s_and_not1_saveexec_b32 s1, s1
	s_cbranch_execz .LBB58_15
; %bb.14:
	ds_load_2addr_stride64_b64 v[10:13], v10 offset1:4
	ds_load_b64 v[3:4], v8
	ds_load_b64 v[18:19], v9 offset:2048
	s_waitcnt lgkmcnt(2)
	v_mul_f32_e32 v0, v11, v12
	v_mul_f32_e64 v8, v11, -v13
	s_waitcnt lgkmcnt(0)
	v_mul_f32_e32 v6, v19, v3
	v_mul_f32_e64 v14, v19, -v4
	v_fmac_f32_e32 v0, v13, v10
	v_fmac_f32_e32 v8, v12, v10
	s_delay_alu instid0(VALU_DEP_4) | instskip(NEXT) | instid1(VALU_DEP_4)
	v_fmac_f32_e32 v6, v4, v18
	v_fmac_f32_e32 v14, v3, v18
	s_delay_alu instid0(VALU_DEP_2) | instskip(NEXT) | instid1(VALU_DEP_2)
	v_sub_f32_e32 v0, v0, v6
	v_sub_f32_e32 v6, v8, v14
	ds_load_2addr_stride64_b64 v[14:17], v7 offset1:4
	s_waitcnt lgkmcnt(0)
	v_mul_f32_e64 v28, v11, -v17
	v_mul_f32_e32 v11, v11, v16
	v_mul_f32_e32 v8, v0, v0
	v_mul_f32_e64 v23, v15, -v13
	v_mul_f32_e32 v25, v15, v12
	v_mul_f32_e64 v26, v17, -v4
	s_delay_alu instid0(VALU_DEP_4) | instskip(NEXT) | instid1(VALU_DEP_2)
	v_dual_mul_f32 v27, v17, v3 :: v_dual_fmac_f32 v8, v6, v6
	v_dual_fmac_f32 v23, v12, v14 :: v_dual_fmac_f32 v26, v3, v16
	s_delay_alu instid0(VALU_DEP_2) | instskip(NEXT) | instid1(VALU_DEP_3)
	v_fmac_f32_e32 v27, v4, v16
	v_div_scale_f32 v20, null, v8, v8, 1.0
	v_div_scale_f32 v22, vcc_lo, 1.0, v8, 1.0
	s_delay_alu instid0(VALU_DEP_2) | instskip(SKIP_2) | instid1(VALU_DEP_1)
	v_rcp_f32_e32 v21, v20
	s_waitcnt_depctr 0xfff
	v_fma_f32 v7, -v20, v21, 1.0
	v_fmac_f32_e32 v21, v7, v21
	s_delay_alu instid0(VALU_DEP_1) | instskip(NEXT) | instid1(VALU_DEP_1)
	v_mul_f32_e32 v7, v22, v21
	v_fma_f32 v24, -v20, v7, v22
	s_delay_alu instid0(VALU_DEP_1) | instskip(SKIP_2) | instid1(VALU_DEP_3)
	v_fmac_f32_e32 v7, v24, v21
	v_mul_f32_e64 v24, v19, -v15
	v_mul_f32_e32 v19, v19, v14
	v_fma_f32 v12, -v20, v7, v22
	s_delay_alu instid0(VALU_DEP_3) | instskip(SKIP_1) | instid1(VALU_DEP_4)
	v_fmac_f32_e32 v24, v14, v18
	v_fmac_f32_e32 v11, v17, v10
	;; [unrolled: 1-line block ×3, first 2 shown]
	s_delay_alu instid0(VALU_DEP_4) | instskip(NEXT) | instid1(VALU_DEP_2)
	v_div_fmas_f32 v3, v12, v21, v7
	v_sub_f32_e32 v11, v11, v19
	v_fma_f32 v4, v6, 0, -v0
	s_delay_alu instid0(VALU_DEP_3) | instskip(SKIP_2) | instid1(VALU_DEP_3)
	v_div_fixup_f32 v3, v3, v8, 1.0
	v_fmac_f32_e32 v25, v13, v14
	v_fma_f32 v0, 0, v0, v6
	v_mul_f32_e32 v4, v4, v3
	v_fmac_f32_e32 v28, v16, v10
	v_sub_f32_e32 v10, v23, v26
	v_sub_f32_e32 v8, v25, v27
	v_mul_f32_e32 v0, v0, v3
	v_mul_f32_e64 v3, v4, -v11
	s_delay_alu instid0(VALU_DEP_4) | instskip(NEXT) | instid1(VALU_DEP_4)
	v_mul_f32_e32 v7, v10, v4
	v_mul_f32_e64 v6, v4, -v8
	s_delay_alu instid0(VALU_DEP_2) | instskip(SKIP_1) | instid1(VALU_DEP_3)
	v_fmac_f32_e32 v7, v8, v0
	v_sub_f32_e32 v12, v28, v24
	v_fmac_f32_e32 v6, v10, v0
	s_delay_alu instid0(VALU_DEP_2)
	v_mul_f32_e32 v4, v4, v12
	v_fmac_f32_e32 v3, v12, v0
	ds_store_b64 v9, v[6:7] offset:12288
	v_fmac_f32_e32 v4, v11, v0
	v_mov_b32_e32 v0, v5
.LBB58_15:
	s_or_b32 exec_lo, exec_lo, s1
	s_delay_alu instid0(VALU_DEP_1)
	v_lshlrev_b32_e32 v0, 3, v0
	ds_store_b64 v0, v[3:4] offset:12288
.LBB58_16:
	s_or_b32 exec_lo, exec_lo, s0
	s_waitcnt lgkmcnt(0)
	s_barrier
	buffer_gl0_inv
	s_and_saveexec_b32 s0, s2
	s_cbranch_execz .LBB58_18
; %bb.17:
	ds_load_b64 v[3:4], v9 offset:12288
	v_lshlrev_b64 v[0:1], 3, v[1:2]
	s_delay_alu instid0(VALU_DEP_1) | instskip(NEXT) | instid1(VALU_DEP_2)
	v_add_co_u32 v0, vcc_lo, s4, v0
	v_add_co_ci_u32_e32 v1, vcc_lo, s5, v1, vcc_lo
	s_waitcnt lgkmcnt(0)
	global_store_b64 v[0:1], v[3:4], off
.LBB58_18:
	s_nop 0
	s_sendmsg sendmsg(MSG_DEALLOC_VGPRS)
	s_endpgm
	.section	.rodata,"a",@progbits
	.p2align	6, 0x0
	.amdhsa_kernel _ZN9rocsparseL44gtsv_nopivot_strided_batch_pcr_shared_kernelILj512E21rocsparse_complex_numIfEEEviiiPKT0_S5_S5_PS3_
		.amdhsa_group_segment_fixed_size 20480
		.amdhsa_private_segment_fixed_size 0
		.amdhsa_kernarg_size 48
		.amdhsa_user_sgpr_count 15
		.amdhsa_user_sgpr_dispatch_ptr 0
		.amdhsa_user_sgpr_queue_ptr 0
		.amdhsa_user_sgpr_kernarg_segment_ptr 1
		.amdhsa_user_sgpr_dispatch_id 0
		.amdhsa_user_sgpr_private_segment_size 0
		.amdhsa_wavefront_size32 1
		.amdhsa_uses_dynamic_stack 0
		.amdhsa_enable_private_segment 0
		.amdhsa_system_sgpr_workgroup_id_x 1
		.amdhsa_system_sgpr_workgroup_id_y 0
		.amdhsa_system_sgpr_workgroup_id_z 0
		.amdhsa_system_sgpr_workgroup_info 0
		.amdhsa_system_vgpr_workitem_id 0
		.amdhsa_next_free_vgpr 39
		.amdhsa_next_free_sgpr 16
		.amdhsa_reserve_vcc 1
		.amdhsa_float_round_mode_32 0
		.amdhsa_float_round_mode_16_64 0
		.amdhsa_float_denorm_mode_32 3
		.amdhsa_float_denorm_mode_16_64 3
		.amdhsa_dx10_clamp 1
		.amdhsa_ieee_mode 1
		.amdhsa_fp16_overflow 0
		.amdhsa_workgroup_processor_mode 1
		.amdhsa_memory_ordered 1
		.amdhsa_forward_progress 0
		.amdhsa_shared_vgpr_count 0
		.amdhsa_exception_fp_ieee_invalid_op 0
		.amdhsa_exception_fp_denorm_src 0
		.amdhsa_exception_fp_ieee_div_zero 0
		.amdhsa_exception_fp_ieee_overflow 0
		.amdhsa_exception_fp_ieee_underflow 0
		.amdhsa_exception_fp_ieee_inexact 0
		.amdhsa_exception_int_div_zero 0
	.end_amdhsa_kernel
	.section	.text._ZN9rocsparseL44gtsv_nopivot_strided_batch_pcr_shared_kernelILj512E21rocsparse_complex_numIfEEEviiiPKT0_S5_S5_PS3_,"axG",@progbits,_ZN9rocsparseL44gtsv_nopivot_strided_batch_pcr_shared_kernelILj512E21rocsparse_complex_numIfEEEviiiPKT0_S5_S5_PS3_,comdat
.Lfunc_end58:
	.size	_ZN9rocsparseL44gtsv_nopivot_strided_batch_pcr_shared_kernelILj512E21rocsparse_complex_numIfEEEviiiPKT0_S5_S5_PS3_, .Lfunc_end58-_ZN9rocsparseL44gtsv_nopivot_strided_batch_pcr_shared_kernelILj512E21rocsparse_complex_numIfEEEviiiPKT0_S5_S5_PS3_
                                        ; -- End function
	.section	.AMDGPU.csdata,"",@progbits
; Kernel info:
; codeLenInByte = 1752
; NumSgprs: 18
; NumVgprs: 39
; ScratchSize: 0
; MemoryBound: 0
; FloatMode: 240
; IeeeMode: 1
; LDSByteSize: 20480 bytes/workgroup (compile time only)
; SGPRBlocks: 2
; VGPRBlocks: 4
; NumSGPRsForWavesPerEU: 18
; NumVGPRsForWavesPerEU: 39
; Occupancy: 16
; WaveLimiterHint : 0
; COMPUTE_PGM_RSRC2:SCRATCH_EN: 0
; COMPUTE_PGM_RSRC2:USER_SGPR: 15
; COMPUTE_PGM_RSRC2:TRAP_HANDLER: 0
; COMPUTE_PGM_RSRC2:TGID_X_EN: 1
; COMPUTE_PGM_RSRC2:TGID_Y_EN: 0
; COMPUTE_PGM_RSRC2:TGID_Z_EN: 0
; COMPUTE_PGM_RSRC2:TIDIG_COMP_CNT: 0
	.section	.text._ZN9rocsparseL49gtsv_nopivot_strided_batch_pcr_pow2_stage1_kernelILj256E21rocsparse_complex_numIfEEEviiiiPKT0_S5_S5_S5_PS3_S6_S6_S6_,"axG",@progbits,_ZN9rocsparseL49gtsv_nopivot_strided_batch_pcr_pow2_stage1_kernelILj256E21rocsparse_complex_numIfEEEviiiiPKT0_S5_S5_S5_PS3_S6_S6_S6_,comdat
	.globl	_ZN9rocsparseL49gtsv_nopivot_strided_batch_pcr_pow2_stage1_kernelILj256E21rocsparse_complex_numIfEEEviiiiPKT0_S5_S5_S5_PS3_S6_S6_S6_ ; -- Begin function _ZN9rocsparseL49gtsv_nopivot_strided_batch_pcr_pow2_stage1_kernelILj256E21rocsparse_complex_numIfEEEviiiiPKT0_S5_S5_S5_PS3_S6_S6_S6_
	.p2align	8
	.type	_ZN9rocsparseL49gtsv_nopivot_strided_batch_pcr_pow2_stage1_kernelILj256E21rocsparse_complex_numIfEEEviiiiPKT0_S5_S5_S5_PS3_S6_S6_S6_,@function
_ZN9rocsparseL49gtsv_nopivot_strided_batch_pcr_pow2_stage1_kernelILj256E21rocsparse_complex_numIfEEEviiiiPKT0_S5_S5_S5_PS3_S6_S6_S6_: ; @_ZN9rocsparseL49gtsv_nopivot_strided_batch_pcr_pow2_stage1_kernelILj256E21rocsparse_complex_numIfEEEviiiiPKT0_S5_S5_S5_PS3_S6_S6_S6_
; %bb.0:
	s_clause 0x3
	s_load_b64 s[2:3], s[0:1], 0x0
	s_load_b32 s12, s[0:1], 0xc
	s_load_b256 s[4:11], s[0:1], 0x30
	s_load_b256 s[16:23], s[0:1], 0x10
	v_lshl_or_b32 v0, s14, 8, v0
	s_waitcnt lgkmcnt(0)
	s_delay_alu instid0(VALU_DEP_1)
	v_dual_mov_b32 v2, 0 :: v_dual_add_nc_u32 v1, s2, v0
	s_mul_i32 s0, s15, s3
	s_mul_i32 s12, s15, s12
	s_ashr_i32 s1, s0, 31
	s_add_i32 s13, s3, -1
	v_cmp_gt_i32_e32 vcc_lo, s3, v1
	s_lshl_b64 s[14:15], s[0:1], 3
	v_subrev_nc_u32_e32 v4, s2, v0
	s_add_u32 s1, s10, s14
	s_addc_u32 s2, s11, s15
	v_cndmask_b32_e32 v3, s13, v1, vcc_lo
	s_ashr_i32 s13, s12, 31
	v_max_i32_e32 v1, 0, v4
	s_lshl_b64 s[10:11], s[12:13], 3
	s_delay_alu instid0(SALU_CYCLE_1)
	s_add_u32 s0, s22, s10
	s_addc_u32 s3, s23, s11
	v_ashrrev_i32_e32 v4, 31, v3
	s_add_u32 s8, s8, s14
	s_addc_u32 s9, s9, s15
	v_lshlrev_b64 v[5:6], 3, v[1:2]
	s_add_u32 s12, s20, s10
	s_addc_u32 s13, s21, s11
	s_add_u32 s6, s6, s14
	v_lshlrev_b64 v[2:3], 3, v[3:4]
	s_addc_u32 s7, s7, s15
	s_add_u32 s18, s18, s10
	s_addc_u32 s19, s19, s11
	v_add_co_u32 v7, vcc_lo, s18, v5
	v_add_co_ci_u32_e32 v8, vcc_lo, s19, v6, vcc_lo
	v_add_co_u32 v9, vcc_lo, s18, v2
	v_add_co_ci_u32_e32 v10, vcc_lo, s19, v3, vcc_lo
	s_clause 0x1
	global_load_b64 v[7:8], v[7:8], off
	global_load_b64 v[9:10], v[9:10], off
	v_ashrrev_i32_e32 v1, 31, v0
	s_add_u32 s4, s4, s14
	s_addc_u32 s5, s5, s15
	s_add_u32 s10, s16, s10
	s_addc_u32 s11, s17, s11
	v_lshlrev_b64 v[0:1], 3, v[0:1]
	s_delay_alu instid0(VALU_DEP_1) | instskip(NEXT) | instid1(VALU_DEP_2)
	v_add_co_u32 v11, vcc_lo, s12, v0
	v_add_co_ci_u32_e32 v12, vcc_lo, s13, v1, vcc_lo
	v_add_co_u32 v13, vcc_lo, s10, v0
	v_add_co_ci_u32_e32 v14, vcc_lo, s11, v1, vcc_lo
	global_load_b64 v[11:12], v[11:12], off
	global_load_b64 v[13:14], v[13:14], off
	v_add_co_u32 v15, vcc_lo, s0, v5
	v_add_co_ci_u32_e32 v16, vcc_lo, s3, v6, vcc_lo
	v_add_co_u32 v17, vcc_lo, s12, v5
	v_add_co_ci_u32_e32 v18, vcc_lo, s13, v6, vcc_lo
	;; [unrolled: 2-line block ×5, first 2 shown]
	v_add_co_u32 v2, vcc_lo, s12, v2
	global_load_b64 v[17:18], v[17:18], off
	global_load_b64 v[15:16], v[15:16], off
	v_add_co_ci_u32_e32 v3, vcc_lo, s13, v3, vcc_lo
	v_add_co_u32 v23, vcc_lo, s18, v0
	v_add_co_ci_u32_e32 v24, vcc_lo, s19, v1, vcc_lo
	s_clause 0x1
	global_load_b64 v[4:5], v[4:5], off
	global_load_b64 v[21:22], v[21:22], off
	;; [unrolled: 1-line block ×4, first 2 shown]
	v_add_co_u32 v25, vcc_lo, s0, v0
	v_add_co_ci_u32_e32 v26, vcc_lo, s3, v1, vcc_lo
	global_load_b64 v[23:24], v[23:24], off
	global_load_b64 v[25:26], v[25:26], off
	s_waitcnt vmcnt(10)
	v_dual_mul_f32 v6, v8, v8 :: v_dual_mul_f32 v33, v10, v10
	s_delay_alu instid0(VALU_DEP_1) | instskip(NEXT) | instid1(VALU_DEP_1)
	v_fmac_f32_e32 v6, v7, v7
	v_div_scale_f32 v34, null, v6, v6, 1.0
	v_div_scale_f32 v38, vcc_lo, 1.0, v6, 1.0
	s_delay_alu instid0(VALU_DEP_2) | instskip(SKIP_2) | instid1(VALU_DEP_1)
	v_rcp_f32_e32 v36, v34
	s_waitcnt_depctr 0xfff
	v_fma_f32 v27, -v34, v36, 1.0
	v_dual_fmac_f32 v33, v9, v9 :: v_dual_fmac_f32 v36, v27, v36
	s_delay_alu instid0(VALU_DEP_1) | instskip(SKIP_2) | instid1(VALU_DEP_3)
	v_div_scale_f32 v35, null, v33, v33, 1.0
	v_div_scale_f32 v39, s0, 1.0, v33, 1.0
	v_add_co_u32 v27, s1, s1, v0
	v_rcp_f32_e32 v37, v35
	v_mul_f32_e32 v40, v38, v36
	s_delay_alu instid0(VALU_DEP_1) | instskip(SKIP_2) | instid1(VALU_DEP_1)
	v_fma_f32 v42, -v34, v40, v38
	s_waitcnt_depctr 0xfff
	v_fma_f32 v28, -v35, v37, 1.0
	v_dual_fmac_f32 v40, v42, v36 :: v_dual_fmac_f32 v37, v28, v37
	v_add_co_ci_u32_e64 v28, s1, s2, v1, s1
	v_add_co_u32 v29, s1, s8, v0
	s_delay_alu instid0(VALU_DEP_3) | instskip(SKIP_3) | instid1(VALU_DEP_4)
	v_mul_f32_e32 v41, v39, v37
	v_add_co_ci_u32_e64 v30, s1, s9, v1, s1
	v_fma_f32 v34, -v34, v40, v38
	v_add_co_u32 v31, s1, s6, v0
	v_fma_f32 v43, -v35, v41, v39
	s_waitcnt vmcnt(9)
	v_mul_f32_e32 v42, v10, v12
	v_div_fmas_f32 v34, v34, v36, v40
	s_mov_b32 vcc_lo, s0
	v_mul_f32_e64 v10, v10, -v11
	v_fmac_f32_e32 v41, v43, v37
	s_waitcnt vmcnt(8)
	v_mul_f32_e32 v43, v8, v14
	v_mul_f32_e64 v8, v8, -v13
	v_div_fixup_f32 v6, v34, v6, 1.0
	v_add_co_ci_u32_e64 v32, s1, s7, v1, s1
	v_fma_f32 v35, -v35, v41, v39
	s_delay_alu instid0(VALU_DEP_4) | instskip(SKIP_1) | instid1(VALU_DEP_3)
	v_fmac_f32_e32 v8, v14, v7
	v_dual_fmac_f32 v42, v11, v9 :: v_dual_fmac_f32 v43, v13, v7
	v_div_fmas_f32 v14, v35, v37, v41
	v_add_co_u32 v0, vcc_lo, s4, v0
	v_add_co_ci_u32_e32 v1, vcc_lo, s5, v1, vcc_lo
	s_delay_alu instid0(VALU_DEP_3) | instskip(SKIP_2) | instid1(VALU_DEP_3)
	v_div_fixup_f32 v7, v14, v33, 1.0
	v_fmac_f32_e32 v10, v12, v9
	v_mul_f32_e32 v8, v8, v6
	v_dual_mul_f32 v6, v6, v43 :: v_dual_mul_f32 v11, v7, v42
	s_waitcnt vmcnt(7)
	s_delay_alu instid0(VALU_DEP_2)
	v_dual_mul_f32 v7, v10, v7 :: v_dual_mul_f32 v10, v8, v17
	v_mul_f32_e64 v9, v8, -v18
	s_waitcnt vmcnt(6)
	v_mul_f32_e32 v13, v8, v15
	v_mul_f32_e64 v12, v8, -v16
	s_waitcnt vmcnt(4)
	v_mul_f32_e32 v34, v7, v21
	v_mul_f32_e64 v33, v7, -v22
	s_waitcnt vmcnt(2)
	v_dual_mul_f32 v37, v7, v3 :: v_dual_fmac_f32 v10, v18, v6
	v_mul_f32_e64 v35, v7, -v20
	v_mul_f32_e32 v36, v7, v19
	v_mul_f32_e64 v38, v7, -v2
	v_fmac_f32_e32 v33, v21, v11
	s_waitcnt vmcnt(1)
	v_sub_f32_e32 v7, v24, v10
	v_fmac_f32_e32 v13, v16, v6
	v_dual_mul_f32 v14, v8, v5 :: v_dual_fmac_f32 v9, v17, v6
	v_mul_f32_e64 v8, v8, -v4
	v_fmac_f32_e32 v12, v15, v6
	v_fmac_f32_e32 v36, v20, v11
	s_delay_alu instid0(VALU_DEP_4)
	v_fma_f32 v4, -v4, v6, v14
	v_fma_f32 v2, -v2, v11, v37
	;; [unrolled: 1-line block ×3, first 2 shown]
	v_sub_f32_e32 v6, v23, v9
	s_waitcnt vmcnt(0)
	v_sub_f32_e32 v9, v26, v13
	v_fmac_f32_e32 v34, v22, v11
	v_dual_fmac_f32 v35, v19, v11 :: v_dual_sub_f32 v8, v25, v12
	s_delay_alu instid0(VALU_DEP_3) | instskip(NEXT) | instid1(VALU_DEP_3)
	v_dual_sub_f32 v6, v6, v33 :: v_dual_sub_f32 v9, v9, v36
	v_sub_f32_e32 v7, v7, v34
	v_fma_f32 v3, -v3, v11, v38
	s_delay_alu instid0(VALU_DEP_4)
	v_sub_f32_e32 v8, v8, v35
	global_store_b64 v[0:1], v[4:5], off
	global_store_b64 v[31:32], v[6:7], off
	;; [unrolled: 1-line block ×4, first 2 shown]
	s_nop 0
	s_sendmsg sendmsg(MSG_DEALLOC_VGPRS)
	s_endpgm
	.section	.rodata,"a",@progbits
	.p2align	6, 0x0
	.amdhsa_kernel _ZN9rocsparseL49gtsv_nopivot_strided_batch_pcr_pow2_stage1_kernelILj256E21rocsparse_complex_numIfEEEviiiiPKT0_S5_S5_S5_PS3_S6_S6_S6_
		.amdhsa_group_segment_fixed_size 0
		.amdhsa_private_segment_fixed_size 0
		.amdhsa_kernarg_size 80
		.amdhsa_user_sgpr_count 14
		.amdhsa_user_sgpr_dispatch_ptr 0
		.amdhsa_user_sgpr_queue_ptr 0
		.amdhsa_user_sgpr_kernarg_segment_ptr 1
		.amdhsa_user_sgpr_dispatch_id 0
		.amdhsa_user_sgpr_private_segment_size 0
		.amdhsa_wavefront_size32 1
		.amdhsa_uses_dynamic_stack 0
		.amdhsa_enable_private_segment 0
		.amdhsa_system_sgpr_workgroup_id_x 1
		.amdhsa_system_sgpr_workgroup_id_y 1
		.amdhsa_system_sgpr_workgroup_id_z 0
		.amdhsa_system_sgpr_workgroup_info 0
		.amdhsa_system_vgpr_workitem_id 0
		.amdhsa_next_free_vgpr 44
		.amdhsa_next_free_sgpr 24
		.amdhsa_reserve_vcc 1
		.amdhsa_float_round_mode_32 0
		.amdhsa_float_round_mode_16_64 0
		.amdhsa_float_denorm_mode_32 3
		.amdhsa_float_denorm_mode_16_64 3
		.amdhsa_dx10_clamp 1
		.amdhsa_ieee_mode 1
		.amdhsa_fp16_overflow 0
		.amdhsa_workgroup_processor_mode 1
		.amdhsa_memory_ordered 1
		.amdhsa_forward_progress 0
		.amdhsa_shared_vgpr_count 0
		.amdhsa_exception_fp_ieee_invalid_op 0
		.amdhsa_exception_fp_denorm_src 0
		.amdhsa_exception_fp_ieee_div_zero 0
		.amdhsa_exception_fp_ieee_overflow 0
		.amdhsa_exception_fp_ieee_underflow 0
		.amdhsa_exception_fp_ieee_inexact 0
		.amdhsa_exception_int_div_zero 0
	.end_amdhsa_kernel
	.section	.text._ZN9rocsparseL49gtsv_nopivot_strided_batch_pcr_pow2_stage1_kernelILj256E21rocsparse_complex_numIfEEEviiiiPKT0_S5_S5_S5_PS3_S6_S6_S6_,"axG",@progbits,_ZN9rocsparseL49gtsv_nopivot_strided_batch_pcr_pow2_stage1_kernelILj256E21rocsparse_complex_numIfEEEviiiiPKT0_S5_S5_S5_PS3_S6_S6_S6_,comdat
.Lfunc_end59:
	.size	_ZN9rocsparseL49gtsv_nopivot_strided_batch_pcr_pow2_stage1_kernelILj256E21rocsparse_complex_numIfEEEviiiiPKT0_S5_S5_S5_PS3_S6_S6_S6_, .Lfunc_end59-_ZN9rocsparseL49gtsv_nopivot_strided_batch_pcr_pow2_stage1_kernelILj256E21rocsparse_complex_numIfEEEviiiiPKT0_S5_S5_S5_PS3_S6_S6_S6_
                                        ; -- End function
	.section	.AMDGPU.csdata,"",@progbits
; Kernel info:
; codeLenInByte = 1036
; NumSgprs: 26
; NumVgprs: 44
; ScratchSize: 0
; MemoryBound: 0
; FloatMode: 240
; IeeeMode: 1
; LDSByteSize: 0 bytes/workgroup (compile time only)
; SGPRBlocks: 3
; VGPRBlocks: 5
; NumSGPRsForWavesPerEU: 26
; NumVGPRsForWavesPerEU: 44
; Occupancy: 16
; WaveLimiterHint : 0
; COMPUTE_PGM_RSRC2:SCRATCH_EN: 0
; COMPUTE_PGM_RSRC2:USER_SGPR: 14
; COMPUTE_PGM_RSRC2:TRAP_HANDLER: 0
; COMPUTE_PGM_RSRC2:TGID_X_EN: 1
; COMPUTE_PGM_RSRC2:TGID_Y_EN: 1
; COMPUTE_PGM_RSRC2:TGID_Z_EN: 0
; COMPUTE_PGM_RSRC2:TIDIG_COMP_CNT: 0
	.section	.text._ZN9rocsparseL48gtsv_nopivot_strided_batch_cr_pow2_stage2_kernelILj256E21rocsparse_complex_numIfEEEviiiPKT0_S5_S5_S5_PS3_,"axG",@progbits,_ZN9rocsparseL48gtsv_nopivot_strided_batch_cr_pow2_stage2_kernelILj256E21rocsparse_complex_numIfEEEviiiPKT0_S5_S5_S5_PS3_,comdat
	.globl	_ZN9rocsparseL48gtsv_nopivot_strided_batch_cr_pow2_stage2_kernelILj256E21rocsparse_complex_numIfEEEviiiPKT0_S5_S5_S5_PS3_ ; -- Begin function _ZN9rocsparseL48gtsv_nopivot_strided_batch_cr_pow2_stage2_kernelILj256E21rocsparse_complex_numIfEEEviiiPKT0_S5_S5_S5_PS3_
	.p2align	8
	.type	_ZN9rocsparseL48gtsv_nopivot_strided_batch_cr_pow2_stage2_kernelILj256E21rocsparse_complex_numIfEEEviiiPKT0_S5_S5_S5_PS3_,@function
_ZN9rocsparseL48gtsv_nopivot_strided_batch_cr_pow2_stage2_kernelILj256E21rocsparse_complex_numIfEEEviiiPKT0_S5_S5_S5_PS3_: ; @_ZN9rocsparseL48gtsv_nopivot_strided_batch_cr_pow2_stage2_kernelILj256E21rocsparse_complex_numIfEEEviiiPKT0_S5_S5_S5_PS3_
; %bb.0:
	s_clause 0x2
	s_load_b32 s2, s[0:1], 0x38
	s_load_b32 s3, s[0:1], 0x0
	s_load_b256 s[4:11], s[0:1], 0x10
	s_waitcnt lgkmcnt(0)
	v_mad_u64_u32 v[1:2], null, s2, v0, s[14:15]
	s_mul_i32 s3, s15, s3
	s_delay_alu instid0(VALU_DEP_1) | instid1(SALU_CYCLE_1)
	v_dual_mov_b32 v3, 0 :: v_dual_add_nc_u32 v2, s3, v1
	v_lshl_add_u32 v4, s2, 8, v1
	s_delay_alu instid0(VALU_DEP_2) | instskip(NEXT) | instid1(VALU_DEP_2)
	v_lshlrev_b64 v[5:6], 3, v[2:3]
	v_add_nc_u32_e32 v2, s3, v4
	s_mov_b32 s3, 8
	s_delay_alu instid0(VALU_DEP_1) | instskip(NEXT) | instid1(VALU_DEP_3)
	v_lshlrev_b64 v[2:3], 3, v[2:3]
	v_add_co_u32 v7, vcc_lo, s4, v5
	s_delay_alu instid0(VALU_DEP_4)
	v_add_co_ci_u32_e32 v8, vcc_lo, s5, v6, vcc_lo
	v_add_co_u32 v9, vcc_lo, s6, v5
	v_add_co_ci_u32_e32 v10, vcc_lo, s7, v6, vcc_lo
	v_add_co_u32 v11, vcc_lo, s8, v5
	v_add_co_ci_u32_e32 v12, vcc_lo, s9, v6, vcc_lo
	v_add_co_u32 v5, vcc_lo, s10, v5
	v_add_co_ci_u32_e32 v6, vcc_lo, s11, v6, vcc_lo
	v_add_co_u32 v13, vcc_lo, s4, v2
	v_add_co_ci_u32_e32 v14, vcc_lo, s5, v3, vcc_lo
	v_add_co_u32 v15, vcc_lo, s6, v2
	v_add_co_ci_u32_e32 v16, vcc_lo, s7, v3, vcc_lo
	v_add_co_u32 v17, vcc_lo, s8, v2
	v_add_co_ci_u32_e32 v18, vcc_lo, s9, v3, vcc_lo
	v_add_co_u32 v2, vcc_lo, s10, v2
	v_add_co_ci_u32_e32 v3, vcc_lo, s11, v3, vcc_lo
	global_load_b64 v[7:8], v[7:8], off
	global_load_b64 v[9:10], v[9:10], off
	;; [unrolled: 1-line block ×8, first 2 shown]
	s_load_b64 s[4:5], s[0:1], 0x30
	s_mov_b32 s6, 0
	v_lshlrev_b32_e32 v6, 3, v0
	s_mov_b32 s7, s6
	v_add_nc_u32_e32 v2, 1, v0
	v_dual_mov_b32 v24, s7 :: v_dual_mov_b32 v23, s6
	s_delay_alu instid0(VALU_DEP_3)
	v_or_b32_e32 v5, 0x3000, v6
	s_mov_b32 s6, 1
	s_movk_i32 s7, 0x100
	ds_store_2addr_stride64_b64 v6, v[23:24], v[23:24] offset0:24 offset1:28
	s_waitcnt vmcnt(3)
	ds_store_2addr_stride64_b64 v6, v[7:8], v[13:14] offset1:4
	s_waitcnt vmcnt(2)
	ds_store_2addr_stride64_b64 v6, v[9:10], v[15:16] offset0:8 offset1:12
	s_waitcnt vmcnt(1)
	ds_store_2addr_stride64_b64 v6, v[11:12], v[17:18] offset0:16 offset1:20
	;; [unrolled: 2-line block ×3, first 2 shown]
	s_waitcnt lgkmcnt(0)
	s_barrier
	buffer_gl0_inv
	s_branch .LBB60_2
.LBB60_1:                               ;   in Loop: Header=BB60_2 Depth=1
	s_or_b32 exec_lo, exec_lo, s8
	s_add_i32 s3, s3, -1
	s_lshr_b32 s7, s7, 1
	s_cmp_eq_u32 s3, 0
	s_waitcnt lgkmcnt(0)
	s_barrier
	buffer_gl0_inv
	s_cbranch_scc1 .LBB60_4
.LBB60_2:                               ; =>This Inner Loop Header: Depth=1
	s_lshl_b32 s6, s6, 1
	s_mov_b32 s8, exec_lo
	v_cmpx_gt_u32_e64 s7, v0
	s_cbranch_execz .LBB60_1
; %bb.3:                                ;   in Loop: Header=BB60_2 Depth=1
	v_mad_u64_u32 v[15:16], null, s6, v2, -1
	s_ashr_i32 s2, s6, 1
	s_delay_alu instid0(VALU_DEP_1) | instid1(SALU_CYCLE_1)
	v_add_nc_u32_e32 v3, s2, v15
	v_subrev_nc_u32_e32 v7, s2, v15
	s_delay_alu instid0(VALU_DEP_2) | instskip(NEXT) | instid1(VALU_DEP_2)
	v_min_u32_e32 v3, 0x1ff, v3
	v_lshlrev_b32_e32 v23, 3, v7
	s_delay_alu instid0(VALU_DEP_2)
	v_lshlrev_b32_e32 v3, 3, v3
	ds_load_2addr_stride64_b64 v[7:10], v23 offset1:8
	ds_load_2addr_stride64_b64 v[11:14], v3 offset1:8
	v_lshlrev_b32_e32 v37, 3, v15
	ds_load_2addr_stride64_b64 v[15:18], v37 offset1:8
	ds_load_2addr_stride64_b64 v[19:22], v37 offset0:16 offset1:32
	s_waitcnt lgkmcnt(3)
	v_mul_f32_e32 v31, v10, v10
	s_waitcnt lgkmcnt(2)
	s_delay_alu instid0(VALU_DEP_1) | instskip(NEXT) | instid1(VALU_DEP_1)
	v_dual_mul_f32 v32, v14, v14 :: v_dual_fmac_f32 v31, v9, v9
	v_fmac_f32_e32 v32, v13, v13
	s_waitcnt lgkmcnt(1)
	v_mul_f32_e64 v43, v10, -v15
	s_delay_alu instid0(VALU_DEP_3) | instskip(NEXT) | instid1(VALU_DEP_3)
	v_div_scale_f32 v33, null, v31, v31, 1.0
	v_div_scale_f32 v34, null, v32, v32, 1.0
	v_div_scale_f32 v38, vcc_lo, 1.0, v31, 1.0
	s_delay_alu instid0(VALU_DEP_3) | instskip(NEXT) | instid1(VALU_DEP_2)
	v_rcp_f32_e32 v35, v33
	v_rcp_f32_e32 v36, v34
	v_fmac_f32_e32 v43, v16, v9
	v_div_scale_f32 v39, s2, 1.0, v32, 1.0
	s_waitcnt_depctr 0xfff
	v_fma_f32 v24, -v33, v35, 1.0
	v_fma_f32 v25, -v34, v36, 1.0
	s_delay_alu instid0(VALU_DEP_1) | instskip(SKIP_2) | instid1(VALU_DEP_1)
	v_dual_fmac_f32 v35, v24, v35 :: v_dual_fmac_f32 v36, v25, v36
	ds_load_2addr_stride64_b64 v[23:26], v23 offset0:16 offset1:32
	v_mul_f32_e32 v40, v38, v35
	v_fma_f32 v27, -v33, v40, v38
	s_delay_alu instid0(VALU_DEP_1)
	v_fmac_f32_e32 v40, v27, v35
	ds_load_2addr_stride64_b64 v[27:30], v3 offset0:16 offset1:32
	v_mul_f32_e32 v3, v10, v16
	s_waitcnt lgkmcnt(2)
	v_mul_f32_e32 v16, v14, v20
	v_mul_f32_e64 v14, v14, -v19
	v_fma_f32 v10, -v33, v40, v38
	v_mul_f32_e32 v41, v39, v36
	s_delay_alu instid0(VALU_DEP_4) | instskip(NEXT) | instid1(VALU_DEP_4)
	v_fmac_f32_e32 v16, v19, v13
	v_fmac_f32_e32 v14, v20, v13
	s_delay_alu instid0(VALU_DEP_4) | instskip(NEXT) | instid1(VALU_DEP_4)
	v_div_fmas_f32 v10, v10, v35, v40
	v_fma_f32 v42, -v34, v41, v39
	s_mov_b32 vcc_lo, s2
	s_delay_alu instid0(VALU_DEP_2) | instskip(NEXT) | instid1(VALU_DEP_1)
	v_div_fixup_f32 v10, v10, v31, 1.0
	v_mul_f32_e32 v13, v43, v10
	s_delay_alu instid0(VALU_DEP_1) | instskip(NEXT) | instid1(VALU_DEP_1)
	v_dual_fmac_f32 v3, v15, v9 :: v_dual_mul_f32 v20, v13, v8
	v_mul_f32_e32 v3, v10, v3
	v_fmac_f32_e32 v41, v42, v36
	s_delay_alu instid0(VALU_DEP_1) | instskip(NEXT) | instid1(VALU_DEP_1)
	v_fma_f32 v33, -v34, v41, v39
	v_div_fmas_f32 v33, v33, v36, v41
	s_delay_alu instid0(VALU_DEP_1) | instskip(NEXT) | instid1(VALU_DEP_1)
	v_div_fixup_f32 v9, v33, v32, 1.0
	v_mul_f32_e32 v10, v9, v16
	s_waitcnt lgkmcnt(1)
	v_mul_f32_e64 v16, v13, -v26
	s_delay_alu instid0(VALU_DEP_1) | instskip(SKIP_4) | instid1(VALU_DEP_3)
	v_dual_mul_f32 v9, v14, v9 :: v_dual_fmac_f32 v16, v25, v3
	v_mul_f32_e64 v14, v13, -v24
	v_mul_f32_e32 v19, v13, v25
	v_mul_f32_e32 v15, v13, v23
	v_mul_f32_e64 v13, v13, -v7
	v_dual_sub_f32 v16, v21, v16 :: v_dual_fmac_f32 v19, v26, v3
	s_waitcnt lgkmcnt(0)
	v_mul_f32_e32 v26, v9, v29
	v_fmac_f32_e32 v14, v23, v3
	v_fmac_f32_e32 v15, v24, v3
	v_fma_f32 v7, -v7, v3, v20
	v_fma_f32 v8, -v8, v3, v13
	v_fmac_f32_e32 v26, v30, v10
	v_sub_f32_e32 v14, v17, v14
	v_mul_f32_e32 v24, v9, v11
	v_mul_f32_e64 v23, v9, -v12
	v_mul_f32_e64 v25, v9, -v30
	v_sub_f32_e32 v15, v18, v15
	s_delay_alu instid0(VALU_DEP_4) | instskip(NEXT) | instid1(VALU_DEP_4)
	v_dual_mul_f32 v3, v9, v28 :: v_dual_fmac_f32 v24, v12, v10
	v_fmac_f32_e32 v23, v11, v10
	v_mul_f32_e64 v13, v9, -v27
	v_fmac_f32_e32 v25, v29, v10
	s_delay_alu instid0(VALU_DEP_4) | instskip(SKIP_3) | instid1(VALU_DEP_3)
	v_fma_f32 v9, -v27, v10, v3
	v_dual_sub_f32 v12, v15, v24 :: v_dual_sub_f32 v17, v22, v19
	v_sub_f32_e32 v11, v14, v23
	v_fma_f32 v10, -v28, v10, v13
	v_dual_sub_f32 v13, v16, v25 :: v_dual_sub_f32 v14, v17, v26
	ds_store_2addr_stride64_b64 v37, v[7:8], v[11:12] offset1:8
	ds_store_2addr_stride64_b64 v37, v[9:10], v[13:14] offset0:16 offset1:32
	s_branch .LBB60_1
.LBB60_4:
	v_cmp_ne_u32_e64 s2, 0, v0
	s_mov_b32 s3, exec_lo
	v_cmpx_eq_u32_e32 0, v0
	s_cbranch_execz .LBB60_6
; %bb.5:
	v_add_nc_u32_e64 v19, 0x1f8, 0
	ds_load_2addr_stride64_b64 v[7:10], v19 offset0:15 offset1:19
	ds_load_2addr_stride64_b64 v[11:14], v19 offset0:7 offset1:11
	s_waitcnt lgkmcnt(0)
	v_dual_mul_f32 v2, v14, v7 :: v_dual_mul_f32 v3, v12, v9
	v_mul_f32_e64 v15, v14, -v8
	v_mul_f32_e64 v16, v12, -v10
	s_delay_alu instid0(VALU_DEP_3) | instskip(NEXT) | instid1(VALU_DEP_2)
	v_dual_fmac_f32 v2, v8, v13 :: v_dual_fmac_f32 v3, v10, v11
	v_dual_fmac_f32 v15, v7, v13 :: v_dual_fmac_f32 v16, v9, v11
	s_delay_alu instid0(VALU_DEP_1) | instskip(SKIP_3) | instid1(VALU_DEP_1)
	v_dual_sub_f32 v2, v2, v3 :: v_dual_sub_f32 v3, v15, v16
	ds_load_2addr_stride64_b64 v[15:18], v19 offset0:35 offset1:39
	s_waitcnt lgkmcnt(0)
	v_dual_mul_f32 v20, v2, v2 :: v_dual_mul_f32 v27, v16, v7
	v_fmac_f32_e32 v20, v3, v3
	v_mul_f32_e64 v25, v16, -v8
	v_mul_f32_e64 v30, v14, -v18
	v_mul_f32_e32 v14, v14, v17
	v_mul_f32_e64 v28, v18, -v10
	v_div_scale_f32 v21, null, v20, v20, 1.0
	v_fmac_f32_e32 v25, v7, v15
	v_div_scale_f32 v24, vcc_lo, 1.0, v20, 1.0
	s_delay_alu instid0(VALU_DEP_3)
	v_rcp_f32_e32 v22, v21
	v_dual_fmac_f32 v27, v8, v15 :: v_dual_fmac_f32 v28, v9, v17
	v_fma_f32 v8, v3, 0, -v2
	v_fma_f32 v2, 0, v2, v3
	v_fmac_f32_e32 v14, v18, v13
	v_mul_f32_e32 v29, v18, v9
	s_waitcnt_depctr 0xfff
	v_fma_f32 v23, -v21, v22, 1.0
	s_delay_alu instid0(VALU_DEP_1) | instskip(NEXT) | instid1(VALU_DEP_1)
	v_fmac_f32_e32 v22, v23, v22
	v_mul_f32_e32 v23, v24, v22
	s_delay_alu instid0(VALU_DEP_1) | instskip(NEXT) | instid1(VALU_DEP_1)
	v_fma_f32 v26, -v21, v23, v24
	v_fmac_f32_e32 v23, v26, v22
	v_mul_f32_e64 v26, v12, -v16
	v_dual_mul_f32 v12, v12, v15 :: v_dual_fmac_f32 v29, v10, v17
	s_delay_alu instid0(VALU_DEP_3) | instskip(NEXT) | instid1(VALU_DEP_3)
	v_fma_f32 v7, -v21, v23, v24
	v_fmac_f32_e32 v26, v15, v11
	s_delay_alu instid0(VALU_DEP_3) | instskip(SKIP_1) | instid1(VALU_DEP_4)
	v_dual_fmac_f32 v12, v16, v11 :: v_dual_sub_f32 v9, v27, v29
	v_fmac_f32_e32 v30, v17, v13
	v_div_fmas_f32 v7, v7, v22, v23
	s_delay_alu instid0(VALU_DEP_3) | instskip(NEXT) | instid1(VALU_DEP_3)
	v_sub_f32_e32 v11, v14, v12
	v_sub_f32_e32 v12, v30, v26
	s_delay_alu instid0(VALU_DEP_3) | instskip(NEXT) | instid1(VALU_DEP_1)
	v_div_fixup_f32 v7, v7, v20, 1.0
	v_dual_sub_f32 v10, v25, v28 :: v_dual_mul_f32 v13, v2, v7
	v_mul_f32_e32 v8, v8, v7
	s_delay_alu instid0(VALU_DEP_1) | instskip(NEXT) | instid1(VALU_DEP_1)
	v_mul_f32_e32 v3, v10, v8
	v_fmac_f32_e32 v3, v9, v13
	v_mul_f32_e64 v2, v8, -v9
	v_mul_f32_e64 v7, v8, -v11
	v_mul_f32_e32 v8, v8, v12
	s_delay_alu instid0(VALU_DEP_3) | instskip(NEXT) | instid1(VALU_DEP_3)
	v_fmac_f32_e32 v2, v10, v13
	v_fmac_f32_e32 v7, v12, v13
	s_delay_alu instid0(VALU_DEP_3)
	v_fmac_f32_e32 v8, v11, v13
	ds_store_2addr_stride64_b64 v19, v[2:3], v[7:8] offset0:27 offset1:31
.LBB60_6:
	s_or_b32 exec_lo, exec_lo, s3
	s_delay_alu instid0(SALU_CYCLE_1)
	s_mov_b32 s3, exec_lo
	s_waitcnt lgkmcnt(0)
	s_barrier
	buffer_gl0_inv
	v_cmpx_gt_u32_e32 2, v0
	s_cbranch_execz .LBB60_12
; %bb.7:
	v_lshlrev_b32_e32 v2, 8, v0
                                        ; implicit-def: $vgpr3
	s_delay_alu instid0(VALU_DEP_1) | instskip(SKIP_1) | instid1(SALU_CYCLE_1)
	v_lshlrev_b32_e32 v7, 3, v2
	s_and_saveexec_b32 s6, s2
	s_xor_b32 s6, exec_lo, s6
	s_cbranch_execz .LBB60_9
; %bb.8:
	s_delay_alu instid0(VALU_DEP_1) | instskip(SKIP_3) | instid1(VALU_DEP_1)
	v_add_nc_u32_e32 v2, 0x1f8, v7
	ds_load_2addr_stride64_b64 v[8:11], v2 offset0:1 offset1:9
	s_waitcnt lgkmcnt(0)
	v_mul_f32_e32 v3, v11, v11
	v_fmac_f32_e32 v3, v10, v10
	ds_load_2addr_stride64_b64 v[12:15], v2 offset0:17 offset1:23
	ds_load_2addr_stride64_b64 v[16:19], v2 offset0:27 offset1:33
	v_div_scale_f32 v20, null, v3, v3, 1.0
	v_div_scale_f32 v22, vcc_lo, 1.0, v3, 1.0
	s_delay_alu instid0(VALU_DEP_2) | instskip(SKIP_3) | instid1(VALU_DEP_1)
	v_rcp_f32_e32 v21, v20
	s_waitcnt_depctr 0xfff
	v_fma_f32 v2, -v20, v21, 1.0
	s_waitcnt lgkmcnt(0)
	v_dual_mul_f32 v24, v17, v12 :: v_dual_fmac_f32 v21, v2, v21
	v_mul_f32_e32 v2, v15, v8
	v_mul_f32_e64 v15, v15, -v9
	s_delay_alu instid0(VALU_DEP_3) | instskip(NEXT) | instid1(VALU_DEP_3)
	v_dual_fmac_f32 v24, v13, v16 :: v_dual_mul_f32 v23, v22, v21
	v_fmac_f32_e32 v2, v9, v14
	v_mul_f32_e64 v9, v17, -v13
	s_delay_alu instid0(VALU_DEP_4) | instskip(NEXT) | instid1(VALU_DEP_4)
	v_fmac_f32_e32 v15, v8, v14
	v_fma_f32 v8, -v20, v23, v22
	s_delay_alu instid0(VALU_DEP_3) | instskip(NEXT) | instid1(VALU_DEP_2)
	v_dual_sub_f32 v2, v19, v2 :: v_dual_fmac_f32 v9, v12, v16
	v_dual_fmac_f32 v23, v8, v21 :: v_dual_sub_f32 v8, v18, v15
	s_delay_alu instid0(VALU_DEP_1) | instskip(NEXT) | instid1(VALU_DEP_2)
	v_fma_f32 v12, -v20, v23, v22
	v_sub_f32_e32 v8, v8, v9
	s_delay_alu instid0(VALU_DEP_4) | instskip(NEXT) | instid1(VALU_DEP_3)
	v_sub_f32_e32 v2, v2, v24
	v_div_fmas_f32 v12, v12, v21, v23
	s_delay_alu instid0(VALU_DEP_2) | instskip(NEXT) | instid1(VALU_DEP_4)
	v_mul_f32_e32 v9, v11, v2
	v_mul_f32_e64 v11, v11, -v8
	s_delay_alu instid0(VALU_DEP_3) | instskip(NEXT) | instid1(VALU_DEP_3)
	v_div_fixup_f32 v3, v12, v3, 1.0
	v_fmac_f32_e32 v9, v8, v10
	s_delay_alu instid0(VALU_DEP_1) | instskip(NEXT) | instid1(VALU_DEP_1)
	v_dual_fmac_f32 v11, v2, v10 :: v_dual_mul_f32 v2, v3, v9
	v_mul_f32_e32 v3, v3, v11
.LBB60_9:
	s_and_not1_saveexec_b32 s6, s6
	s_cbranch_execz .LBB60_11
; %bb.10:
	v_add_nc_u32_e32 v2, 0x1f8, v7
	ds_load_2addr_stride64_b64 v[8:11], v2 offset0:9 offset1:17
	s_waitcnt lgkmcnt(0)
	v_mul_f32_e32 v3, v9, v9
	ds_load_2addr_stride64_b64 v[12:15], v2 offset0:27 offset1:33
	v_fmac_f32_e32 v3, v8, v8
	s_delay_alu instid0(VALU_DEP_1) | instskip(SKIP_1) | instid1(VALU_DEP_2)
	v_div_scale_f32 v16, null, v3, v3, 1.0
	v_div_scale_f32 v18, vcc_lo, 1.0, v3, 1.0
	v_rcp_f32_e32 v17, v16
	s_waitcnt lgkmcnt(0)
	v_mul_f32_e32 v19, v13, v10
	v_mul_f32_e64 v13, v13, -v11
	s_waitcnt_depctr 0xfff
	v_fma_f32 v2, -v16, v17, 1.0
	v_fmac_f32_e32 v13, v10, v12
	s_delay_alu instid0(VALU_DEP_1) | instskip(NEXT) | instid1(VALU_DEP_1)
	v_dual_fmac_f32 v19, v11, v12 :: v_dual_sub_f32 v12, v14, v13
	v_dual_fmac_f32 v17, v2, v17 :: v_dual_sub_f32 v10, v15, v19
	s_delay_alu instid0(VALU_DEP_1) | instskip(NEXT) | instid1(VALU_DEP_3)
	v_dual_mul_f32 v2, v18, v17 :: v_dual_mul_f32 v13, v9, v10
	v_mul_f32_e64 v9, v9, -v12
	s_delay_alu instid0(VALU_DEP_2) | instskip(NEXT) | instid1(VALU_DEP_3)
	v_fma_f32 v20, -v16, v2, v18
	v_fmac_f32_e32 v13, v12, v8
	s_delay_alu instid0(VALU_DEP_2) | instskip(NEXT) | instid1(VALU_DEP_1)
	v_fmac_f32_e32 v2, v20, v17
	v_fma_f32 v11, -v16, v2, v18
	s_delay_alu instid0(VALU_DEP_1) | instskip(NEXT) | instid1(VALU_DEP_1)
	v_div_fmas_f32 v2, v11, v17, v2
	v_div_fixup_f32 v3, v2, v3, 1.0
	s_delay_alu instid0(VALU_DEP_1) | instskip(NEXT) | instid1(VALU_DEP_1)
	v_dual_fmac_f32 v9, v10, v8 :: v_dual_mul_f32 v2, v3, v13
	v_mul_f32_e32 v3, v9, v3
.LBB60_11:
	s_or_b32 exec_lo, exec_lo, s6
	ds_store_b64 v7, v[2:3] offset:13304
.LBB60_12:
	s_or_b32 exec_lo, exec_lo, s3
	s_delay_alu instid0(SALU_CYCLE_1)
	s_mov_b32 s3, exec_lo
	s_waitcnt lgkmcnt(0)
	s_barrier
	buffer_gl0_inv
	v_cmpx_gt_u32_e32 4, v0
	s_cbranch_execz .LBB60_18
; %bb.13:
	v_lshlrev_b32_e32 v2, 7, v0
                                        ; implicit-def: $vgpr3
	s_delay_alu instid0(VALU_DEP_1) | instskip(SKIP_1) | instid1(SALU_CYCLE_1)
	v_lshlrev_b32_e32 v7, 3, v2
	s_and_saveexec_b32 s6, s2
	s_xor_b32 s6, exec_lo, s6
	s_cbranch_execz .LBB60_15
; %bb.14:
	s_delay_alu instid0(VALU_DEP_1) | instskip(SKIP_3) | instid1(VALU_DEP_1)
	v_add_nc_u32_e32 v2, 0x1f8, v7
	ds_load_2addr_stride64_b64 v[8:11], v2 offset1:8
	s_waitcnt lgkmcnt(0)
	v_mul_f32_e32 v3, v11, v11
	v_fmac_f32_e32 v3, v10, v10
	ds_load_2addr_stride64_b64 v[12:15], v2 offset0:16 offset1:23
	ds_load_2addr_stride64_b64 v[16:19], v2 offset0:25 offset1:32
	v_div_scale_f32 v20, null, v3, v3, 1.0
	v_div_scale_f32 v22, vcc_lo, 1.0, v3, 1.0
	s_delay_alu instid0(VALU_DEP_2) | instskip(SKIP_3) | instid1(VALU_DEP_1)
	v_rcp_f32_e32 v21, v20
	s_waitcnt_depctr 0xfff
	v_fma_f32 v2, -v20, v21, 1.0
	s_waitcnt lgkmcnt(0)
	v_dual_mul_f32 v24, v17, v12 :: v_dual_fmac_f32 v21, v2, v21
	v_mul_f32_e32 v2, v15, v8
	v_mul_f32_e64 v15, v15, -v9
	s_delay_alu instid0(VALU_DEP_3) | instskip(NEXT) | instid1(VALU_DEP_3)
	v_dual_fmac_f32 v24, v13, v16 :: v_dual_mul_f32 v23, v22, v21
	v_fmac_f32_e32 v2, v9, v14
	v_mul_f32_e64 v9, v17, -v13
	s_delay_alu instid0(VALU_DEP_4) | instskip(NEXT) | instid1(VALU_DEP_4)
	v_fmac_f32_e32 v15, v8, v14
	v_fma_f32 v8, -v20, v23, v22
	s_delay_alu instid0(VALU_DEP_3) | instskip(NEXT) | instid1(VALU_DEP_2)
	v_dual_sub_f32 v2, v19, v2 :: v_dual_fmac_f32 v9, v12, v16
	v_dual_fmac_f32 v23, v8, v21 :: v_dual_sub_f32 v8, v18, v15
	s_delay_alu instid0(VALU_DEP_1) | instskip(NEXT) | instid1(VALU_DEP_2)
	v_fma_f32 v12, -v20, v23, v22
	v_sub_f32_e32 v8, v8, v9
	s_delay_alu instid0(VALU_DEP_4) | instskip(NEXT) | instid1(VALU_DEP_3)
	v_sub_f32_e32 v2, v2, v24
	v_div_fmas_f32 v12, v12, v21, v23
	s_delay_alu instid0(VALU_DEP_2) | instskip(NEXT) | instid1(VALU_DEP_4)
	v_mul_f32_e32 v9, v11, v2
	v_mul_f32_e64 v11, v11, -v8
	s_delay_alu instid0(VALU_DEP_3) | instskip(NEXT) | instid1(VALU_DEP_3)
	v_div_fixup_f32 v3, v12, v3, 1.0
	v_fmac_f32_e32 v9, v8, v10
	s_delay_alu instid0(VALU_DEP_1) | instskip(NEXT) | instid1(VALU_DEP_1)
	v_dual_fmac_f32 v11, v2, v10 :: v_dual_mul_f32 v2, v3, v9
	v_mul_f32_e32 v3, v3, v11
.LBB60_15:
	s_and_not1_saveexec_b32 s6, s6
	s_cbranch_execz .LBB60_17
; %bb.16:
	v_add_nc_u32_e32 v2, 0x1f8, v7
	ds_load_2addr_stride64_b64 v[8:11], v2 offset0:8 offset1:16
	s_waitcnt lgkmcnt(0)
	v_mul_f32_e32 v3, v9, v9
	ds_load_2addr_stride64_b64 v[12:15], v2 offset0:25 offset1:32
	v_fmac_f32_e32 v3, v8, v8
	s_delay_alu instid0(VALU_DEP_1) | instskip(SKIP_1) | instid1(VALU_DEP_2)
	v_div_scale_f32 v16, null, v3, v3, 1.0
	v_div_scale_f32 v18, vcc_lo, 1.0, v3, 1.0
	v_rcp_f32_e32 v17, v16
	s_waitcnt lgkmcnt(0)
	v_mul_f32_e32 v19, v13, v10
	v_mul_f32_e64 v13, v13, -v11
	s_waitcnt_depctr 0xfff
	v_fma_f32 v2, -v16, v17, 1.0
	v_fmac_f32_e32 v13, v10, v12
	s_delay_alu instid0(VALU_DEP_1) | instskip(NEXT) | instid1(VALU_DEP_1)
	v_dual_fmac_f32 v19, v11, v12 :: v_dual_sub_f32 v12, v14, v13
	v_dual_fmac_f32 v17, v2, v17 :: v_dual_sub_f32 v10, v15, v19
	s_delay_alu instid0(VALU_DEP_1) | instskip(NEXT) | instid1(VALU_DEP_3)
	v_dual_mul_f32 v2, v18, v17 :: v_dual_mul_f32 v13, v9, v10
	v_mul_f32_e64 v9, v9, -v12
	s_delay_alu instid0(VALU_DEP_2) | instskip(NEXT) | instid1(VALU_DEP_3)
	v_fma_f32 v20, -v16, v2, v18
	v_fmac_f32_e32 v13, v12, v8
	s_delay_alu instid0(VALU_DEP_2) | instskip(NEXT) | instid1(VALU_DEP_1)
	v_fmac_f32_e32 v2, v20, v17
	v_fma_f32 v11, -v16, v2, v18
	s_delay_alu instid0(VALU_DEP_1) | instskip(NEXT) | instid1(VALU_DEP_1)
	v_div_fmas_f32 v2, v11, v17, v2
	v_div_fixup_f32 v3, v2, v3, 1.0
	s_delay_alu instid0(VALU_DEP_1) | instskip(NEXT) | instid1(VALU_DEP_1)
	v_dual_fmac_f32 v9, v10, v8 :: v_dual_mul_f32 v2, v3, v13
	v_mul_f32_e32 v3, v9, v3
.LBB60_17:
	s_or_b32 exec_lo, exec_lo, s6
	ds_store_b64 v7, v[2:3] offset:12792
.LBB60_18:
	s_or_b32 exec_lo, exec_lo, s3
	s_delay_alu instid0(SALU_CYCLE_1)
	s_mov_b32 s3, exec_lo
	s_waitcnt lgkmcnt(0)
	s_barrier
	buffer_gl0_inv
	v_cmpx_gt_u32_e32 8, v0
	s_cbranch_execz .LBB60_24
; %bb.19:
	v_lshlrev_b32_e32 v2, 6, v0
                                        ; implicit-def: $vgpr3
	s_delay_alu instid0(VALU_DEP_1) | instskip(SKIP_1) | instid1(SALU_CYCLE_1)
	v_lshlrev_b32_e32 v7, 3, v2
	s_and_saveexec_b32 s6, s2
	s_xor_b32 s6, exec_lo, s6
	s_cbranch_execz .LBB60_21
; %bb.20:
	s_delay_alu instid0(VALU_DEP_1)
	v_add_nc_u32_e32 v2, 0xf8, v7
	ds_load_2addr_stride64_b64 v[8:11], v2 offset1:8
	v_add_nc_u32_e32 v2, 0x1f8, v7
	ds_load_2addr_stride64_b64 v[12:15], v2 offset0:23 offset1:24
	ds_load_b64 v[2:3], v7 offset:8440
	ds_load_b64 v[16:17], v7 offset:16632
	s_waitcnt lgkmcnt(3)
	v_mul_f32_e32 v18, v11, v11
	s_delay_alu instid0(VALU_DEP_1) | instskip(NEXT) | instid1(VALU_DEP_1)
	v_fmac_f32_e32 v18, v10, v10
	v_div_scale_f32 v19, null, v18, v18, 1.0
	s_delay_alu instid0(VALU_DEP_1) | instskip(SKIP_2) | instid1(VALU_DEP_1)
	v_rcp_f32_e32 v20, v19
	s_waitcnt_depctr 0xfff
	v_fma_f32 v21, -v19, v20, 1.0
	v_fmac_f32_e32 v20, v21, v20
	s_waitcnt lgkmcnt(2)
	v_mul_f32_e32 v21, v13, v8
	v_mul_f32_e64 v13, v13, -v9
	s_delay_alu instid0(VALU_DEP_2) | instskip(SKIP_4) | instid1(VALU_DEP_2)
	v_fmac_f32_e32 v21, v9, v12
	v_div_scale_f32 v22, vcc_lo, 1.0, v18, 1.0
	s_waitcnt lgkmcnt(1)
	v_mul_f32_e64 v9, v15, -v3
	v_dual_mul_f32 v24, v15, v2 :: v_dual_fmac_f32 v13, v8, v12
	v_fmac_f32_e32 v9, v2, v14
	v_mul_f32_e32 v23, v22, v20
	s_delay_alu instid0(VALU_DEP_1) | instskip(SKIP_2) | instid1(VALU_DEP_2)
	v_fma_f32 v8, -v19, v23, v22
	s_waitcnt lgkmcnt(0)
	v_dual_fmac_f32 v24, v3, v14 :: v_dual_sub_f32 v3, v17, v21
	v_fmac_f32_e32 v23, v8, v20
	s_delay_alu instid0(VALU_DEP_2) | instskip(NEXT) | instid1(VALU_DEP_2)
	v_dual_sub_f32 v2, v16, v13 :: v_dual_sub_f32 v3, v3, v24
	v_fma_f32 v8, -v19, v23, v22
	s_delay_alu instid0(VALU_DEP_2) | instskip(NEXT) | instid1(VALU_DEP_2)
	v_dual_sub_f32 v2, v2, v9 :: v_dual_mul_f32 v9, v11, v3
	v_div_fmas_f32 v8, v8, v20, v23
	s_delay_alu instid0(VALU_DEP_2) | instskip(NEXT) | instid1(VALU_DEP_3)
	v_mul_f32_e64 v11, v11, -v2
	v_fmac_f32_e32 v9, v2, v10
	s_delay_alu instid0(VALU_DEP_3) | instskip(NEXT) | instid1(VALU_DEP_1)
	v_div_fixup_f32 v8, v8, v18, 1.0
	v_dual_fmac_f32 v11, v3, v10 :: v_dual_mul_f32 v2, v8, v9
	s_delay_alu instid0(VALU_DEP_1)
	v_mul_f32_e32 v3, v8, v11
.LBB60_21:
	s_and_not1_saveexec_b32 s6, s6
	s_cbranch_execz .LBB60_23
; %bb.22:
	v_add_nc_u32_e32 v2, 0xf8, v7
	ds_load_b64 v[12:13], v7 offset:16632
	ds_load_2addr_stride64_b64 v[8:11], v2 offset0:8 offset1:16
	ds_load_b64 v[2:3], v7 offset:12792
	s_waitcnt lgkmcnt(0)
	v_dual_mul_f32 v14, v9, v9 :: v_dual_mul_f32 v19, v3, v10
	v_mul_f32_e64 v3, v3, -v11
	s_delay_alu instid0(VALU_DEP_2) | instskip(NEXT) | instid1(VALU_DEP_2)
	v_dual_fmac_f32 v14, v8, v8 :: v_dual_fmac_f32 v19, v11, v2
	v_fmac_f32_e32 v3, v10, v2
	s_delay_alu instid0(VALU_DEP_2) | instskip(SKIP_1) | instid1(VALU_DEP_3)
	v_div_scale_f32 v15, null, v14, v14, 1.0
	v_div_scale_f32 v18, vcc_lo, 1.0, v14, 1.0
	v_sub_f32_e32 v3, v12, v3
	s_delay_alu instid0(VALU_DEP_3) | instskip(SKIP_1) | instid1(VALU_DEP_1)
	v_rcp_f32_e32 v16, v15
	v_sub_f32_e32 v2, v13, v19
	v_mul_f32_e32 v11, v9, v2
	s_delay_alu instid0(VALU_DEP_3) | instskip(SKIP_3) | instid1(VALU_DEP_2)
	v_mul_f32_e64 v9, v9, -v3
	s_waitcnt_depctr 0xfff
	v_fma_f32 v17, -v15, v16, 1.0
	v_fmac_f32_e32 v11, v3, v8
	v_fmac_f32_e32 v16, v17, v16
	s_delay_alu instid0(VALU_DEP_1) | instskip(NEXT) | instid1(VALU_DEP_1)
	v_mul_f32_e32 v17, v18, v16
	v_fma_f32 v20, -v15, v17, v18
	s_delay_alu instid0(VALU_DEP_1) | instskip(NEXT) | instid1(VALU_DEP_1)
	v_fmac_f32_e32 v17, v20, v16
	v_fma_f32 v10, -v15, v17, v18
	s_delay_alu instid0(VALU_DEP_1) | instskip(NEXT) | instid1(VALU_DEP_1)
	v_div_fmas_f32 v10, v10, v16, v17
	v_div_fixup_f32 v3, v10, v14, 1.0
	s_delay_alu instid0(VALU_DEP_1) | instskip(NEXT) | instid1(VALU_DEP_1)
	v_dual_fmac_f32 v9, v2, v8 :: v_dual_mul_f32 v2, v3, v11
	v_mul_f32_e32 v3, v9, v3
.LBB60_23:
	s_or_b32 exec_lo, exec_lo, s6
	ds_store_b64 v7, v[2:3] offset:12536
.LBB60_24:
	s_or_b32 exec_lo, exec_lo, s3
	s_delay_alu instid0(SALU_CYCLE_1)
	s_mov_b32 s3, exec_lo
	s_waitcnt lgkmcnt(0)
	s_barrier
	buffer_gl0_inv
	v_cmpx_gt_u32_e32 16, v0
	s_cbranch_execz .LBB60_30
; %bb.25:
	v_lshlrev_b32_e32 v2, 5, v0
                                        ; implicit-def: $vgpr3
	s_delay_alu instid0(VALU_DEP_1) | instskip(SKIP_1) | instid1(SALU_CYCLE_1)
	v_lshlrev_b32_e32 v7, 3, v2
	s_and_saveexec_b32 s6, s2
	s_xor_b32 s6, exec_lo, s6
	s_cbranch_execz .LBB60_27
; %bb.26:
	s_delay_alu instid0(VALU_DEP_1)
	v_add_nc_u32_e32 v2, 0x78, v7
	ds_load_2addr_stride64_b64 v[8:11], v2 offset1:8
	v_add_nc_u32_e32 v2, 0x2c00, v7
	ds_load_2addr_b64 v[12:15], v2 offset0:127 offset1:159
	ds_load_b64 v[2:3], v7 offset:8312
	ds_load_b64 v[16:17], v7 offset:16504
	s_waitcnt lgkmcnt(3)
	v_mul_f32_e32 v18, v11, v11
	s_delay_alu instid0(VALU_DEP_1) | instskip(NEXT) | instid1(VALU_DEP_1)
	v_fmac_f32_e32 v18, v10, v10
	v_div_scale_f32 v19, null, v18, v18, 1.0
	s_delay_alu instid0(VALU_DEP_1) | instskip(SKIP_2) | instid1(VALU_DEP_1)
	v_rcp_f32_e32 v20, v19
	s_waitcnt_depctr 0xfff
	v_fma_f32 v21, -v19, v20, 1.0
	v_fmac_f32_e32 v20, v21, v20
	s_waitcnt lgkmcnt(2)
	v_mul_f32_e32 v21, v13, v8
	v_mul_f32_e64 v13, v13, -v9
	s_delay_alu instid0(VALU_DEP_2) | instskip(SKIP_4) | instid1(VALU_DEP_2)
	v_fmac_f32_e32 v21, v9, v12
	v_div_scale_f32 v22, vcc_lo, 1.0, v18, 1.0
	s_waitcnt lgkmcnt(1)
	v_mul_f32_e64 v9, v15, -v3
	v_dual_mul_f32 v24, v15, v2 :: v_dual_fmac_f32 v13, v8, v12
	v_fmac_f32_e32 v9, v2, v14
	v_mul_f32_e32 v23, v22, v20
	s_delay_alu instid0(VALU_DEP_1) | instskip(SKIP_2) | instid1(VALU_DEP_2)
	v_fma_f32 v8, -v19, v23, v22
	s_waitcnt lgkmcnt(0)
	v_dual_fmac_f32 v24, v3, v14 :: v_dual_sub_f32 v3, v17, v21
	v_fmac_f32_e32 v23, v8, v20
	s_delay_alu instid0(VALU_DEP_2) | instskip(NEXT) | instid1(VALU_DEP_2)
	v_dual_sub_f32 v2, v16, v13 :: v_dual_sub_f32 v3, v3, v24
	v_fma_f32 v8, -v19, v23, v22
	s_delay_alu instid0(VALU_DEP_2) | instskip(NEXT) | instid1(VALU_DEP_2)
	v_dual_sub_f32 v2, v2, v9 :: v_dual_mul_f32 v9, v11, v3
	v_div_fmas_f32 v8, v8, v20, v23
	s_delay_alu instid0(VALU_DEP_2) | instskip(NEXT) | instid1(VALU_DEP_3)
	v_mul_f32_e64 v11, v11, -v2
	v_fmac_f32_e32 v9, v2, v10
	s_delay_alu instid0(VALU_DEP_3) | instskip(NEXT) | instid1(VALU_DEP_1)
	v_div_fixup_f32 v8, v8, v18, 1.0
	v_dual_fmac_f32 v11, v3, v10 :: v_dual_mul_f32 v2, v8, v9
	s_delay_alu instid0(VALU_DEP_1)
	v_mul_f32_e32 v3, v8, v11
.LBB60_27:
	s_and_not1_saveexec_b32 s6, s6
	s_cbranch_execz .LBB60_29
; %bb.28:
	v_add_nc_u32_e32 v2, 0x78, v7
	ds_load_b64 v[12:13], v7 offset:16504
	ds_load_2addr_stride64_b64 v[8:11], v2 offset0:8 offset1:16
	ds_load_b64 v[2:3], v7 offset:12536
	s_waitcnt lgkmcnt(0)
	v_dual_mul_f32 v14, v9, v9 :: v_dual_mul_f32 v19, v3, v10
	v_mul_f32_e64 v3, v3, -v11
	s_delay_alu instid0(VALU_DEP_2) | instskip(NEXT) | instid1(VALU_DEP_2)
	v_dual_fmac_f32 v14, v8, v8 :: v_dual_fmac_f32 v19, v11, v2
	v_fmac_f32_e32 v3, v10, v2
	s_delay_alu instid0(VALU_DEP_2) | instskip(SKIP_1) | instid1(VALU_DEP_3)
	v_div_scale_f32 v15, null, v14, v14, 1.0
	v_div_scale_f32 v18, vcc_lo, 1.0, v14, 1.0
	v_sub_f32_e32 v3, v12, v3
	s_delay_alu instid0(VALU_DEP_3) | instskip(SKIP_1) | instid1(VALU_DEP_1)
	v_rcp_f32_e32 v16, v15
	v_sub_f32_e32 v2, v13, v19
	v_mul_f32_e32 v11, v9, v2
	s_delay_alu instid0(VALU_DEP_3) | instskip(SKIP_3) | instid1(VALU_DEP_2)
	v_mul_f32_e64 v9, v9, -v3
	s_waitcnt_depctr 0xfff
	v_fma_f32 v17, -v15, v16, 1.0
	v_fmac_f32_e32 v11, v3, v8
	v_fmac_f32_e32 v16, v17, v16
	s_delay_alu instid0(VALU_DEP_1) | instskip(NEXT) | instid1(VALU_DEP_1)
	v_mul_f32_e32 v17, v18, v16
	v_fma_f32 v20, -v15, v17, v18
	s_delay_alu instid0(VALU_DEP_1) | instskip(NEXT) | instid1(VALU_DEP_1)
	v_fmac_f32_e32 v17, v20, v16
	v_fma_f32 v10, -v15, v17, v18
	s_delay_alu instid0(VALU_DEP_1) | instskip(NEXT) | instid1(VALU_DEP_1)
	v_div_fmas_f32 v10, v10, v16, v17
	v_div_fixup_f32 v3, v10, v14, 1.0
	s_delay_alu instid0(VALU_DEP_1) | instskip(NEXT) | instid1(VALU_DEP_1)
	v_dual_fmac_f32 v9, v2, v8 :: v_dual_mul_f32 v2, v3, v11
	v_mul_f32_e32 v3, v9, v3
.LBB60_29:
	s_or_b32 exec_lo, exec_lo, s6
	ds_store_b64 v7, v[2:3] offset:12408
.LBB60_30:
	s_or_b32 exec_lo, exec_lo, s3
	s_delay_alu instid0(SALU_CYCLE_1)
	s_mov_b32 s3, exec_lo
	s_waitcnt lgkmcnt(0)
	s_barrier
	buffer_gl0_inv
	v_cmpx_gt_u32_e32 32, v0
	s_cbranch_execz .LBB60_36
; %bb.31:
	v_lshlrev_b32_e32 v2, 4, v0
                                        ; implicit-def: $vgpr3
	s_delay_alu instid0(VALU_DEP_1) | instskip(SKIP_1) | instid1(SALU_CYCLE_1)
	v_lshlrev_b32_e32 v7, 3, v2
	s_and_saveexec_b32 s6, s2
	s_xor_b32 s6, exec_lo, s6
	s_cbranch_execz .LBB60_33
; %bb.32:
	s_delay_alu instid0(VALU_DEP_1)
	v_add_nc_u32_e32 v2, 56, v7
	ds_load_2addr_stride64_b64 v[8:11], v2 offset1:8
	v_add_nc_u32_e32 v2, 0x2c00, v7
	ds_load_2addr_b64 v[12:15], v2 offset0:127 offset1:143
	ds_load_b64 v[2:3], v7 offset:8248
	ds_load_b64 v[16:17], v7 offset:16440
	s_waitcnt lgkmcnt(3)
	v_mul_f32_e32 v18, v11, v11
	s_delay_alu instid0(VALU_DEP_1) | instskip(NEXT) | instid1(VALU_DEP_1)
	v_fmac_f32_e32 v18, v10, v10
	v_div_scale_f32 v19, null, v18, v18, 1.0
	s_delay_alu instid0(VALU_DEP_1) | instskip(SKIP_2) | instid1(VALU_DEP_1)
	v_rcp_f32_e32 v20, v19
	s_waitcnt_depctr 0xfff
	v_fma_f32 v21, -v19, v20, 1.0
	v_fmac_f32_e32 v20, v21, v20
	s_waitcnt lgkmcnt(2)
	v_mul_f32_e32 v21, v13, v8
	v_mul_f32_e64 v13, v13, -v9
	s_delay_alu instid0(VALU_DEP_2) | instskip(SKIP_4) | instid1(VALU_DEP_2)
	v_fmac_f32_e32 v21, v9, v12
	v_div_scale_f32 v22, vcc_lo, 1.0, v18, 1.0
	s_waitcnt lgkmcnt(1)
	v_mul_f32_e64 v9, v15, -v3
	v_dual_mul_f32 v24, v15, v2 :: v_dual_fmac_f32 v13, v8, v12
	v_fmac_f32_e32 v9, v2, v14
	v_mul_f32_e32 v23, v22, v20
	s_delay_alu instid0(VALU_DEP_1) | instskip(SKIP_2) | instid1(VALU_DEP_2)
	v_fma_f32 v8, -v19, v23, v22
	s_waitcnt lgkmcnt(0)
	v_dual_fmac_f32 v24, v3, v14 :: v_dual_sub_f32 v3, v17, v21
	v_fmac_f32_e32 v23, v8, v20
	s_delay_alu instid0(VALU_DEP_2) | instskip(NEXT) | instid1(VALU_DEP_2)
	v_dual_sub_f32 v2, v16, v13 :: v_dual_sub_f32 v3, v3, v24
	v_fma_f32 v8, -v19, v23, v22
	s_delay_alu instid0(VALU_DEP_2) | instskip(NEXT) | instid1(VALU_DEP_2)
	v_dual_sub_f32 v2, v2, v9 :: v_dual_mul_f32 v9, v11, v3
	v_div_fmas_f32 v8, v8, v20, v23
	s_delay_alu instid0(VALU_DEP_2) | instskip(NEXT) | instid1(VALU_DEP_3)
	v_mul_f32_e64 v11, v11, -v2
	v_fmac_f32_e32 v9, v2, v10
	s_delay_alu instid0(VALU_DEP_3) | instskip(NEXT) | instid1(VALU_DEP_1)
	v_div_fixup_f32 v8, v8, v18, 1.0
	v_dual_fmac_f32 v11, v3, v10 :: v_dual_mul_f32 v2, v8, v9
	s_delay_alu instid0(VALU_DEP_1)
	v_mul_f32_e32 v3, v8, v11
.LBB60_33:
	s_and_not1_saveexec_b32 s6, s6
	s_cbranch_execz .LBB60_35
; %bb.34:
	v_add_nc_u32_e32 v2, 56, v7
	ds_load_b64 v[12:13], v7 offset:16440
	ds_load_2addr_stride64_b64 v[8:11], v2 offset0:8 offset1:16
	ds_load_b64 v[2:3], v7 offset:12408
	s_waitcnt lgkmcnt(0)
	v_dual_mul_f32 v14, v9, v9 :: v_dual_mul_f32 v19, v3, v10
	v_mul_f32_e64 v3, v3, -v11
	s_delay_alu instid0(VALU_DEP_2) | instskip(NEXT) | instid1(VALU_DEP_2)
	v_dual_fmac_f32 v14, v8, v8 :: v_dual_fmac_f32 v19, v11, v2
	v_fmac_f32_e32 v3, v10, v2
	s_delay_alu instid0(VALU_DEP_2) | instskip(SKIP_1) | instid1(VALU_DEP_3)
	v_div_scale_f32 v15, null, v14, v14, 1.0
	v_div_scale_f32 v18, vcc_lo, 1.0, v14, 1.0
	v_sub_f32_e32 v3, v12, v3
	s_delay_alu instid0(VALU_DEP_3) | instskip(SKIP_1) | instid1(VALU_DEP_1)
	v_rcp_f32_e32 v16, v15
	v_sub_f32_e32 v2, v13, v19
	v_mul_f32_e32 v11, v9, v2
	s_delay_alu instid0(VALU_DEP_3) | instskip(SKIP_3) | instid1(VALU_DEP_2)
	v_mul_f32_e64 v9, v9, -v3
	s_waitcnt_depctr 0xfff
	v_fma_f32 v17, -v15, v16, 1.0
	v_fmac_f32_e32 v11, v3, v8
	v_fmac_f32_e32 v16, v17, v16
	s_delay_alu instid0(VALU_DEP_1) | instskip(NEXT) | instid1(VALU_DEP_1)
	v_mul_f32_e32 v17, v18, v16
	v_fma_f32 v20, -v15, v17, v18
	s_delay_alu instid0(VALU_DEP_1) | instskip(NEXT) | instid1(VALU_DEP_1)
	v_fmac_f32_e32 v17, v20, v16
	v_fma_f32 v10, -v15, v17, v18
	s_delay_alu instid0(VALU_DEP_1) | instskip(NEXT) | instid1(VALU_DEP_1)
	v_div_fmas_f32 v10, v10, v16, v17
	v_div_fixup_f32 v3, v10, v14, 1.0
	s_delay_alu instid0(VALU_DEP_1) | instskip(NEXT) | instid1(VALU_DEP_1)
	v_dual_fmac_f32 v9, v2, v8 :: v_dual_mul_f32 v2, v3, v11
	v_mul_f32_e32 v3, v9, v3
.LBB60_35:
	s_or_b32 exec_lo, exec_lo, s6
	ds_store_b64 v7, v[2:3] offset:12344
.LBB60_36:
	s_or_b32 exec_lo, exec_lo, s3
	s_delay_alu instid0(SALU_CYCLE_1)
	s_mov_b32 s3, exec_lo
	s_waitcnt lgkmcnt(0)
	s_barrier
	buffer_gl0_inv
	v_cmpx_gt_u32_e32 64, v0
	s_cbranch_execz .LBB60_42
; %bb.37:
	v_lshlrev_b32_e32 v6, 3, v6
                                        ; implicit-def: $vgpr3
	s_and_saveexec_b32 s6, s2
	s_delay_alu instid0(SALU_CYCLE_1)
	s_xor_b32 s6, exec_lo, s6
	s_cbranch_execz .LBB60_39
; %bb.38:
	s_delay_alu instid0(VALU_DEP_1)
	v_add_nc_u32_e32 v2, 24, v6
	ds_load_2addr_stride64_b64 v[7:10], v2 offset1:8
	v_add_nc_u32_e32 v2, 0x2c00, v6
	ds_load_2addr_b64 v[11:14], v2 offset0:127 offset1:135
	ds_load_b64 v[2:3], v6 offset:8216
	ds_load_b64 v[15:16], v6 offset:16408
	s_waitcnt lgkmcnt(3)
	v_mul_f32_e32 v17, v10, v10
	s_delay_alu instid0(VALU_DEP_1) | instskip(SKIP_2) | instid1(VALU_DEP_2)
	v_fmac_f32_e32 v17, v9, v9
	s_waitcnt lgkmcnt(1)
	v_mul_f32_e32 v23, v14, v2
	v_div_scale_f32 v18, null, v17, v17, 1.0
	v_div_scale_f32 v21, vcc_lo, 1.0, v17, 1.0
	s_delay_alu instid0(VALU_DEP_3) | instskip(NEXT) | instid1(VALU_DEP_3)
	v_fmac_f32_e32 v23, v3, v13
	v_rcp_f32_e32 v19, v18
	s_waitcnt_depctr 0xfff
	v_fma_f32 v20, -v18, v19, 1.0
	s_delay_alu instid0(VALU_DEP_1) | instskip(SKIP_2) | instid1(VALU_DEP_3)
	v_fmac_f32_e32 v19, v20, v19
	v_mul_f32_e32 v20, v12, v7
	v_mul_f32_e64 v12, v12, -v8
	v_mul_f32_e32 v22, v21, v19
	s_delay_alu instid0(VALU_DEP_3) | instskip(NEXT) | instid1(VALU_DEP_3)
	v_fmac_f32_e32 v20, v8, v11
	v_fmac_f32_e32 v12, v7, v11
	v_mul_f32_e64 v8, v14, -v3
	s_delay_alu instid0(VALU_DEP_4) | instskip(SKIP_1) | instid1(VALU_DEP_2)
	v_fma_f32 v7, -v18, v22, v21
	s_waitcnt lgkmcnt(0)
	v_dual_sub_f32 v3, v16, v20 :: v_dual_fmac_f32 v8, v2, v13
	v_sub_f32_e32 v2, v15, v12
	s_delay_alu instid0(VALU_DEP_3) | instskip(NEXT) | instid1(VALU_DEP_3)
	v_fmac_f32_e32 v22, v7, v19
	v_sub_f32_e32 v3, v3, v23
	s_delay_alu instid0(VALU_DEP_2) | instskip(NEXT) | instid1(VALU_DEP_1)
	v_fma_f32 v7, -v18, v22, v21
	v_div_fmas_f32 v7, v7, v19, v22
	s_delay_alu instid0(VALU_DEP_1) | instskip(SKIP_2) | instid1(VALU_DEP_2)
	v_div_fixup_f32 v7, v7, v17, 1.0
	v_sub_f32_e32 v2, v2, v8
	v_mul_f32_e32 v8, v10, v3
	v_mul_f32_e64 v10, v10, -v2
	s_delay_alu instid0(VALU_DEP_1) | instskip(NEXT) | instid1(VALU_DEP_1)
	v_fmac_f32_e32 v10, v3, v9
	v_dual_mul_f32 v3, v7, v10 :: v_dual_fmac_f32 v8, v2, v9
	s_delay_alu instid0(VALU_DEP_1)
	v_mul_f32_e32 v2, v7, v8
.LBB60_39:
	s_and_not1_saveexec_b32 s6, s6
	s_cbranch_execz .LBB60_41
; %bb.40:
	v_add_nc_u32_e32 v2, 24, v6
	ds_load_b64 v[11:12], v6 offset:16408
	ds_load_2addr_stride64_b64 v[7:10], v2 offset0:8 offset1:16
	ds_load_b64 v[2:3], v6 offset:12344
	s_waitcnt lgkmcnt(0)
	v_dual_mul_f32 v13, v8, v8 :: v_dual_mul_f32 v18, v3, v9
	v_mul_f32_e64 v3, v3, -v10
	s_delay_alu instid0(VALU_DEP_1) | instskip(NEXT) | instid1(VALU_DEP_3)
	v_fmac_f32_e32 v3, v9, v2
	v_dual_fmac_f32 v13, v7, v7 :: v_dual_fmac_f32 v18, v10, v2
	s_delay_alu instid0(VALU_DEP_2) | instskip(NEXT) | instid1(VALU_DEP_2)
	v_sub_f32_e32 v3, v11, v3
	v_div_scale_f32 v14, null, v13, v13, 1.0
	s_delay_alu instid0(VALU_DEP_3) | instskip(SKIP_1) | instid1(VALU_DEP_3)
	v_sub_f32_e32 v2, v12, v18
	v_div_scale_f32 v17, vcc_lo, 1.0, v13, 1.0
	v_rcp_f32_e32 v15, v14
	s_delay_alu instid0(VALU_DEP_2) | instskip(SKIP_1) | instid1(VALU_DEP_2)
	v_mul_f32_e32 v10, v8, v2
	v_mul_f32_e64 v8, v8, -v3
	v_fmac_f32_e32 v10, v3, v7
	s_delay_alu instid0(VALU_DEP_2) | instskip(SKIP_2) | instid1(VALU_DEP_1)
	v_fmac_f32_e32 v8, v2, v7
	s_waitcnt_depctr 0xfff
	v_fma_f32 v16, -v14, v15, 1.0
	v_fmac_f32_e32 v15, v16, v15
	s_delay_alu instid0(VALU_DEP_1) | instskip(NEXT) | instid1(VALU_DEP_1)
	v_mul_f32_e32 v16, v17, v15
	v_fma_f32 v19, -v14, v16, v17
	s_delay_alu instid0(VALU_DEP_1) | instskip(NEXT) | instid1(VALU_DEP_1)
	v_fmac_f32_e32 v16, v19, v15
	v_fma_f32 v9, -v14, v16, v17
	s_delay_alu instid0(VALU_DEP_1) | instskip(NEXT) | instid1(VALU_DEP_1)
	v_div_fmas_f32 v9, v9, v15, v16
	v_div_fixup_f32 v3, v9, v13, 1.0
	s_delay_alu instid0(VALU_DEP_1)
	v_dual_mul_f32 v2, v3, v10 :: v_dual_mul_f32 v3, v8, v3
.LBB60_41:
	s_or_b32 exec_lo, exec_lo, s6
	ds_store_b64 v6, v[2:3] offset:12312
.LBB60_42:
	s_or_b32 exec_lo, exec_lo, s3
	s_delay_alu instid0(SALU_CYCLE_1)
	s_mov_b32 s3, exec_lo
	s_waitcnt lgkmcnt(0)
	s_barrier
	buffer_gl0_inv
	v_cmpx_gt_u32_e32 0x80, v0
	s_cbranch_execz .LBB60_48
; %bb.43:
	v_lshlrev_b32_e32 v2, 2, v0
                                        ; implicit-def: $vgpr3
	s_delay_alu instid0(VALU_DEP_1) | instskip(SKIP_1) | instid1(SALU_CYCLE_1)
	v_lshlrev_b32_e32 v6, 3, v2
	s_and_saveexec_b32 s6, s2
	s_xor_b32 s6, exec_lo, s6
	s_cbranch_execz .LBB60_45
; %bb.44:
	s_delay_alu instid0(VALU_DEP_1)
	v_add_nc_u32_e32 v2, 8, v6
	ds_load_2addr_stride64_b64 v[7:10], v2 offset1:8
	v_add_nc_u32_e32 v2, 0x2c00, v6
	ds_load_2addr_b64 v[11:14], v2 offset0:127 offset1:131
	ds_load_b64 v[2:3], v6 offset:8200
	ds_load_b64 v[15:16], v6 offset:16392
	s_waitcnt lgkmcnt(3)
	v_mul_f32_e32 v17, v10, v10
	s_delay_alu instid0(VALU_DEP_1) | instskip(SKIP_2) | instid1(VALU_DEP_2)
	v_fmac_f32_e32 v17, v9, v9
	s_waitcnt lgkmcnt(1)
	v_mul_f32_e32 v23, v14, v2
	v_div_scale_f32 v18, null, v17, v17, 1.0
	v_div_scale_f32 v21, vcc_lo, 1.0, v17, 1.0
	s_delay_alu instid0(VALU_DEP_3) | instskip(NEXT) | instid1(VALU_DEP_3)
	v_fmac_f32_e32 v23, v3, v13
	v_rcp_f32_e32 v19, v18
	s_waitcnt_depctr 0xfff
	v_fma_f32 v20, -v18, v19, 1.0
	s_delay_alu instid0(VALU_DEP_1) | instskip(SKIP_2) | instid1(VALU_DEP_3)
	v_fmac_f32_e32 v19, v20, v19
	v_mul_f32_e32 v20, v12, v7
	v_mul_f32_e64 v12, v12, -v8
	v_mul_f32_e32 v22, v21, v19
	s_delay_alu instid0(VALU_DEP_3) | instskip(NEXT) | instid1(VALU_DEP_3)
	v_fmac_f32_e32 v20, v8, v11
	v_fmac_f32_e32 v12, v7, v11
	v_mul_f32_e64 v8, v14, -v3
	s_delay_alu instid0(VALU_DEP_4) | instskip(SKIP_1) | instid1(VALU_DEP_2)
	v_fma_f32 v7, -v18, v22, v21
	s_waitcnt lgkmcnt(0)
	v_dual_sub_f32 v3, v16, v20 :: v_dual_fmac_f32 v8, v2, v13
	v_sub_f32_e32 v2, v15, v12
	s_delay_alu instid0(VALU_DEP_3) | instskip(NEXT) | instid1(VALU_DEP_3)
	v_fmac_f32_e32 v22, v7, v19
	v_sub_f32_e32 v3, v3, v23
	s_delay_alu instid0(VALU_DEP_2) | instskip(NEXT) | instid1(VALU_DEP_1)
	v_fma_f32 v7, -v18, v22, v21
	v_div_fmas_f32 v7, v7, v19, v22
	s_delay_alu instid0(VALU_DEP_1) | instskip(SKIP_2) | instid1(VALU_DEP_2)
	v_div_fixup_f32 v7, v7, v17, 1.0
	v_sub_f32_e32 v2, v2, v8
	v_mul_f32_e32 v8, v10, v3
	v_mul_f32_e64 v10, v10, -v2
	s_delay_alu instid0(VALU_DEP_1) | instskip(NEXT) | instid1(VALU_DEP_1)
	v_fmac_f32_e32 v10, v3, v9
	v_dual_mul_f32 v3, v7, v10 :: v_dual_fmac_f32 v8, v2, v9
	s_delay_alu instid0(VALU_DEP_1)
	v_mul_f32_e32 v2, v7, v8
.LBB60_45:
	s_and_not1_saveexec_b32 s6, s6
	s_cbranch_execz .LBB60_47
; %bb.46:
	v_add_nc_u32_e32 v2, 8, v6
	ds_load_b64 v[11:12], v6 offset:16392
	ds_load_2addr_stride64_b64 v[7:10], v2 offset0:8 offset1:16
	ds_load_b64 v[2:3], v6 offset:12312
	s_waitcnt lgkmcnt(0)
	v_dual_mul_f32 v13, v8, v8 :: v_dual_mul_f32 v18, v3, v9
	v_mul_f32_e64 v3, v3, -v10
	s_delay_alu instid0(VALU_DEP_1) | instskip(NEXT) | instid1(VALU_DEP_3)
	v_fmac_f32_e32 v3, v9, v2
	v_dual_fmac_f32 v13, v7, v7 :: v_dual_fmac_f32 v18, v10, v2
	s_delay_alu instid0(VALU_DEP_2) | instskip(NEXT) | instid1(VALU_DEP_2)
	v_sub_f32_e32 v3, v11, v3
	v_div_scale_f32 v14, null, v13, v13, 1.0
	s_delay_alu instid0(VALU_DEP_3) | instskip(SKIP_1) | instid1(VALU_DEP_3)
	v_sub_f32_e32 v2, v12, v18
	v_div_scale_f32 v17, vcc_lo, 1.0, v13, 1.0
	v_rcp_f32_e32 v15, v14
	s_delay_alu instid0(VALU_DEP_2) | instskip(SKIP_1) | instid1(VALU_DEP_2)
	v_mul_f32_e32 v10, v8, v2
	v_mul_f32_e64 v8, v8, -v3
	v_fmac_f32_e32 v10, v3, v7
	s_delay_alu instid0(VALU_DEP_2) | instskip(SKIP_2) | instid1(VALU_DEP_1)
	v_fmac_f32_e32 v8, v2, v7
	s_waitcnt_depctr 0xfff
	v_fma_f32 v16, -v14, v15, 1.0
	v_fmac_f32_e32 v15, v16, v15
	s_delay_alu instid0(VALU_DEP_1) | instskip(NEXT) | instid1(VALU_DEP_1)
	v_mul_f32_e32 v16, v17, v15
	v_fma_f32 v19, -v14, v16, v17
	s_delay_alu instid0(VALU_DEP_1) | instskip(NEXT) | instid1(VALU_DEP_1)
	v_fmac_f32_e32 v16, v19, v15
	v_fma_f32 v9, -v14, v16, v17
	s_delay_alu instid0(VALU_DEP_1) | instskip(NEXT) | instid1(VALU_DEP_1)
	v_div_fmas_f32 v9, v9, v15, v16
	v_div_fixup_f32 v3, v9, v13, 1.0
	s_delay_alu instid0(VALU_DEP_1)
	v_dual_mul_f32 v2, v3, v10 :: v_dual_mul_f32 v3, v8, v3
.LBB60_47:
	s_or_b32 exec_lo, exec_lo, s6
	ds_store_b64 v6, v[2:3] offset:12296
.LBB60_48:
	s_or_b32 exec_lo, exec_lo, s3
	s_delay_alu instid0(SALU_CYCLE_1)
	s_mov_b32 s3, exec_lo
	s_waitcnt lgkmcnt(0)
	s_barrier
	buffer_gl0_inv
	v_cmpx_gt_u32_e32 0x100, v0
	s_cbranch_execz .LBB60_54
; %bb.49:
	v_lshlrev_b32_e32 v0, 1, v0
                                        ; implicit-def: $vgpr3
	s_delay_alu instid0(VALU_DEP_1) | instskip(SKIP_1) | instid1(SALU_CYCLE_1)
	v_lshlrev_b32_e32 v0, 3, v0
	s_and_saveexec_b32 s6, s2
	s_xor_b32 s2, exec_lo, s6
	s_cbranch_execz .LBB60_51
; %bb.50:
	ds_load_2addr_stride64_b64 v[6:9], v0 offset1:8
	v_add_nc_u32_e32 v2, 0x2c00, v0
	ds_load_2addr_b64 v[10:13], v2 offset0:127 offset1:129
	ds_load_b64 v[2:3], v0 offset:8192
	ds_load_b64 v[14:15], v0 offset:16384
	s_waitcnt lgkmcnt(3)
	v_mul_f32_e32 v16, v9, v9
	s_delay_alu instid0(VALU_DEP_1) | instskip(NEXT) | instid1(VALU_DEP_1)
	v_fmac_f32_e32 v16, v8, v8
	v_div_scale_f32 v17, null, v16, v16, 1.0
	s_delay_alu instid0(VALU_DEP_1) | instskip(SKIP_2) | instid1(VALU_DEP_1)
	v_rcp_f32_e32 v18, v17
	s_waitcnt_depctr 0xfff
	v_fma_f32 v19, -v17, v18, 1.0
	v_fmac_f32_e32 v18, v19, v18
	s_waitcnt lgkmcnt(2)
	v_mul_f32_e32 v19, v11, v6
	v_mul_f32_e64 v11, v11, -v7
	s_delay_alu instid0(VALU_DEP_2)
	v_fmac_f32_e32 v19, v7, v10
	v_div_scale_f32 v20, vcc_lo, 1.0, v16, 1.0
	s_waitcnt lgkmcnt(1)
	v_mul_f32_e64 v7, v13, -v3
	v_mul_f32_e32 v22, v13, v2
	v_fmac_f32_e32 v11, v6, v10
	s_delay_alu instid0(VALU_DEP_3) | instskip(NEXT) | instid1(VALU_DEP_3)
	v_fmac_f32_e32 v7, v2, v12
	v_dual_fmac_f32 v22, v3, v12 :: v_dual_mul_f32 v21, v20, v18
	s_waitcnt lgkmcnt(0)
	v_sub_f32_e32 v3, v15, v19
	v_sub_f32_e32 v2, v14, v11
	s_delay_alu instid0(VALU_DEP_3) | instskip(NEXT) | instid1(VALU_DEP_2)
	v_fma_f32 v6, -v17, v21, v20
	v_dual_sub_f32 v3, v3, v22 :: v_dual_sub_f32 v2, v2, v7
	s_delay_alu instid0(VALU_DEP_2) | instskip(NEXT) | instid1(VALU_DEP_2)
	v_fmac_f32_e32 v21, v6, v18
	v_mul_f32_e32 v7, v9, v3
	s_delay_alu instid0(VALU_DEP_3) | instskip(NEXT) | instid1(VALU_DEP_3)
	v_mul_f32_e64 v9, v9, -v2
	v_fma_f32 v6, -v17, v21, v20
	s_delay_alu instid0(VALU_DEP_2) | instskip(NEXT) | instid1(VALU_DEP_4)
	v_fmac_f32_e32 v9, v3, v8
	v_fmac_f32_e32 v7, v2, v8
	s_delay_alu instid0(VALU_DEP_3) | instskip(NEXT) | instid1(VALU_DEP_1)
	v_div_fmas_f32 v6, v6, v18, v21
	v_div_fixup_f32 v6, v6, v16, 1.0
	s_delay_alu instid0(VALU_DEP_1)
	v_mul_f32_e32 v2, v6, v7
	v_mul_f32_e32 v3, v6, v9
.LBB60_51:
	s_and_not1_saveexec_b32 s2, s2
	s_cbranch_execz .LBB60_53
; %bb.52:
	ds_load_2addr_stride64_b64 v[6:9], v0 offset0:8 offset1:16
	ds_load_b64 v[2:3], v0 offset:12296
	ds_load_b64 v[10:11], v0 offset:16384
	s_waitcnt lgkmcnt(2)
	v_mul_f32_e32 v12, v7, v7
	s_waitcnt lgkmcnt(1)
	v_mul_f32_e32 v17, v3, v8
	v_mul_f32_e64 v3, v3, -v9
	s_delay_alu instid0(VALU_DEP_3) | instskip(NEXT) | instid1(VALU_DEP_3)
	v_fmac_f32_e32 v12, v6, v6
	v_fmac_f32_e32 v17, v9, v2
	s_delay_alu instid0(VALU_DEP_3) | instskip(NEXT) | instid1(VALU_DEP_3)
	v_fmac_f32_e32 v3, v8, v2
	v_div_scale_f32 v13, null, v12, v12, 1.0
	v_div_scale_f32 v16, vcc_lo, 1.0, v12, 1.0
	s_waitcnt lgkmcnt(0)
	s_delay_alu instid0(VALU_DEP_3) | instskip(NEXT) | instid1(VALU_DEP_3)
	v_sub_f32_e32 v3, v10, v3
	v_rcp_f32_e32 v14, v13
	v_sub_f32_e32 v2, v11, v17
	s_delay_alu instid0(VALU_DEP_1) | instskip(NEXT) | instid1(VALU_DEP_3)
	v_mul_f32_e32 v9, v7, v2
	v_mul_f32_e64 v7, v7, -v3
	s_waitcnt_depctr 0xfff
	v_fma_f32 v15, -v13, v14, 1.0
	v_fmac_f32_e32 v9, v3, v6
	v_fmac_f32_e32 v7, v2, v6
	s_delay_alu instid0(VALU_DEP_3) | instskip(NEXT) | instid1(VALU_DEP_1)
	v_fmac_f32_e32 v14, v15, v14
	v_mul_f32_e32 v15, v16, v14
	s_delay_alu instid0(VALU_DEP_1) | instskip(NEXT) | instid1(VALU_DEP_1)
	v_fma_f32 v18, -v13, v15, v16
	v_fmac_f32_e32 v15, v18, v14
	s_delay_alu instid0(VALU_DEP_1) | instskip(NEXT) | instid1(VALU_DEP_1)
	v_fma_f32 v8, -v13, v15, v16
	v_div_fmas_f32 v8, v8, v14, v15
	s_delay_alu instid0(VALU_DEP_1) | instskip(NEXT) | instid1(VALU_DEP_1)
	v_div_fixup_f32 v3, v8, v12, 1.0
	v_mul_f32_e32 v2, v3, v9
	v_mul_f32_e32 v3, v7, v3
.LBB60_53:
	s_or_b32 exec_lo, exec_lo, s2
	ds_store_b64 v0, v[2:3] offset:12288
.LBB60_54:
	s_or_b32 exec_lo, exec_lo, s3
	s_load_b32 s0, s[0:1], 0x8
	s_waitcnt lgkmcnt(0)
	s_barrier
	buffer_gl0_inv
	s_mul_i32 s15, s15, s0
	s_delay_alu instid0(SALU_CYCLE_1) | instskip(SKIP_3) | instid1(VALU_DEP_1)
	v_dual_mov_b32 v7, 0 :: v_dual_add_nc_u32 v6, s15, v1
	ds_load_2addr_stride64_b64 v[0:3], v5 offset1:4
	v_lshlrev_b64 v[8:9], 3, v[6:7]
	v_add_nc_u32_e32 v6, s15, v4
	v_lshlrev_b64 v[4:5], 3, v[6:7]
	s_delay_alu instid0(VALU_DEP_3) | instskip(NEXT) | instid1(VALU_DEP_4)
	v_add_co_u32 v6, vcc_lo, s4, v8
	v_add_co_ci_u32_e32 v7, vcc_lo, s5, v9, vcc_lo
	s_delay_alu instid0(VALU_DEP_3) | instskip(NEXT) | instid1(VALU_DEP_4)
	v_add_co_u32 v4, vcc_lo, s4, v4
	v_add_co_ci_u32_e32 v5, vcc_lo, s5, v5, vcc_lo
	s_waitcnt lgkmcnt(0)
	s_clause 0x1
	global_store_b64 v[6:7], v[0:1], off
	global_store_b64 v[4:5], v[2:3], off
	s_nop 0
	s_sendmsg sendmsg(MSG_DEALLOC_VGPRS)
	s_endpgm
	.section	.rodata,"a",@progbits
	.p2align	6, 0x0
	.amdhsa_kernel _ZN9rocsparseL48gtsv_nopivot_strided_batch_cr_pow2_stage2_kernelILj256E21rocsparse_complex_numIfEEEviiiPKT0_S5_S5_S5_PS3_
		.amdhsa_group_segment_fixed_size 20480
		.amdhsa_private_segment_fixed_size 0
		.amdhsa_kernarg_size 312
		.amdhsa_user_sgpr_count 14
		.amdhsa_user_sgpr_dispatch_ptr 0
		.amdhsa_user_sgpr_queue_ptr 0
		.amdhsa_user_sgpr_kernarg_segment_ptr 1
		.amdhsa_user_sgpr_dispatch_id 0
		.amdhsa_user_sgpr_private_segment_size 0
		.amdhsa_wavefront_size32 1
		.amdhsa_uses_dynamic_stack 0
		.amdhsa_enable_private_segment 0
		.amdhsa_system_sgpr_workgroup_id_x 1
		.amdhsa_system_sgpr_workgroup_id_y 1
		.amdhsa_system_sgpr_workgroup_id_z 0
		.amdhsa_system_sgpr_workgroup_info 0
		.amdhsa_system_vgpr_workitem_id 0
		.amdhsa_next_free_vgpr 44
		.amdhsa_next_free_sgpr 16
		.amdhsa_reserve_vcc 1
		.amdhsa_float_round_mode_32 0
		.amdhsa_float_round_mode_16_64 0
		.amdhsa_float_denorm_mode_32 3
		.amdhsa_float_denorm_mode_16_64 3
		.amdhsa_dx10_clamp 1
		.amdhsa_ieee_mode 1
		.amdhsa_fp16_overflow 0
		.amdhsa_workgroup_processor_mode 1
		.amdhsa_memory_ordered 1
		.amdhsa_forward_progress 0
		.amdhsa_shared_vgpr_count 0
		.amdhsa_exception_fp_ieee_invalid_op 0
		.amdhsa_exception_fp_denorm_src 0
		.amdhsa_exception_fp_ieee_div_zero 0
		.amdhsa_exception_fp_ieee_overflow 0
		.amdhsa_exception_fp_ieee_underflow 0
		.amdhsa_exception_fp_ieee_inexact 0
		.amdhsa_exception_int_div_zero 0
	.end_amdhsa_kernel
	.section	.text._ZN9rocsparseL48gtsv_nopivot_strided_batch_cr_pow2_stage2_kernelILj256E21rocsparse_complex_numIfEEEviiiPKT0_S5_S5_S5_PS3_,"axG",@progbits,_ZN9rocsparseL48gtsv_nopivot_strided_batch_cr_pow2_stage2_kernelILj256E21rocsparse_complex_numIfEEEviiiPKT0_S5_S5_S5_PS3_,comdat
.Lfunc_end60:
	.size	_ZN9rocsparseL48gtsv_nopivot_strided_batch_cr_pow2_stage2_kernelILj256E21rocsparse_complex_numIfEEEviiiPKT0_S5_S5_S5_PS3_, .Lfunc_end60-_ZN9rocsparseL48gtsv_nopivot_strided_batch_cr_pow2_stage2_kernelILj256E21rocsparse_complex_numIfEEEviiiPKT0_S5_S5_S5_PS3_
                                        ; -- End function
	.section	.AMDGPU.csdata,"",@progbits
; Kernel info:
; codeLenInByte = 5984
; NumSgprs: 18
; NumVgprs: 44
; ScratchSize: 0
; MemoryBound: 0
; FloatMode: 240
; IeeeMode: 1
; LDSByteSize: 20480 bytes/workgroup (compile time only)
; SGPRBlocks: 2
; VGPRBlocks: 5
; NumSGPRsForWavesPerEU: 18
; NumVGPRsForWavesPerEU: 44
; Occupancy: 12
; WaveLimiterHint : 0
; COMPUTE_PGM_RSRC2:SCRATCH_EN: 0
; COMPUTE_PGM_RSRC2:USER_SGPR: 14
; COMPUTE_PGM_RSRC2:TRAP_HANDLER: 0
; COMPUTE_PGM_RSRC2:TGID_X_EN: 1
; COMPUTE_PGM_RSRC2:TGID_Y_EN: 1
; COMPUTE_PGM_RSRC2:TGID_Z_EN: 0
; COMPUTE_PGM_RSRC2:TIDIG_COMP_CNT: 0
	.section	.text._ZN9rocsparseL44gtsv_nopivot_strided_batch_pcr_stage1_kernelILj256E21rocsparse_complex_numIfEEEviiiiPKT0_S5_S5_S5_PS3_S6_S6_S6_,"axG",@progbits,_ZN9rocsparseL44gtsv_nopivot_strided_batch_pcr_stage1_kernelILj256E21rocsparse_complex_numIfEEEviiiiPKT0_S5_S5_S5_PS3_S6_S6_S6_,comdat
	.globl	_ZN9rocsparseL44gtsv_nopivot_strided_batch_pcr_stage1_kernelILj256E21rocsparse_complex_numIfEEEviiiiPKT0_S5_S5_S5_PS3_S6_S6_S6_ ; -- Begin function _ZN9rocsparseL44gtsv_nopivot_strided_batch_pcr_stage1_kernelILj256E21rocsparse_complex_numIfEEEviiiiPKT0_S5_S5_S5_PS3_S6_S6_S6_
	.p2align	8
	.type	_ZN9rocsparseL44gtsv_nopivot_strided_batch_pcr_stage1_kernelILj256E21rocsparse_complex_numIfEEEviiiiPKT0_S5_S5_S5_PS3_S6_S6_S6_,@function
_ZN9rocsparseL44gtsv_nopivot_strided_batch_pcr_stage1_kernelILj256E21rocsparse_complex_numIfEEEviiiiPKT0_S5_S5_S5_PS3_S6_S6_S6_: ; @_ZN9rocsparseL44gtsv_nopivot_strided_batch_pcr_stage1_kernelILj256E21rocsparse_complex_numIfEEEviiiiPKT0_S5_S5_S5_PS3_S6_S6_S6_
; %bb.0:
	s_load_b64 s[8:9], s[0:1], 0x0
	v_lshl_or_b32 v0, s14, 8, v0
	s_mov_b32 s2, exec_lo
	s_waitcnt lgkmcnt(0)
	s_delay_alu instid0(VALU_DEP_1)
	v_cmpx_gt_i32_e64 s9, v0
	s_cbranch_execz .LBB61_2
; %bb.1:
	s_clause 0x2
	s_load_b32 s10, s[0:1], 0xc
	s_load_b256 s[16:23], s[0:1], 0x10
	s_load_b256 s[0:7], s[0:1], 0x30
	v_subrev_nc_u32_e32 v1, s8, v0
	s_mul_i32 s12, s15, s9
	v_mov_b32_e32 v2, 0
	v_add_nc_u32_e32 v6, s8, v0
	s_delay_alu instid0(VALU_DEP_3) | instskip(NEXT) | instid1(VALU_DEP_1)
	v_max_i32_e32 v1, 0, v1
	v_lshlrev_b64 v[2:3], 3, v[1:2]
	v_ashrrev_i32_e32 v1, 31, v0
	s_delay_alu instid0(VALU_DEP_1) | instskip(SKIP_2) | instid1(SALU_CYCLE_1)
	v_lshlrev_b64 v[0:1], 3, v[0:1]
	s_waitcnt lgkmcnt(0)
	s_mul_i32 s10, s15, s10
	s_ashr_i32 s11, s10, 31
	s_delay_alu instid0(SALU_CYCLE_1) | instskip(NEXT) | instid1(SALU_CYCLE_1)
	s_lshl_b64 s[14:15], s[10:11], 3
	s_add_u32 s16, s16, s14
	s_addc_u32 s17, s17, s15
	s_ashr_i32 s13, s12, 31
	s_delay_alu instid0(SALU_CYCLE_1) | instskip(NEXT) | instid1(SALU_CYCLE_1)
	s_lshl_b64 s[12:13], s[12:13], 3
	s_add_u32 s0, s0, s12
	s_addc_u32 s8, s1, s13
	s_add_u32 s18, s18, s14
	s_addc_u32 s19, s19, s15
	;; [unrolled: 2-line block ×3, first 2 shown]
	s_add_u32 s20, s20, s14
	v_add_co_u32 v4, vcc_lo, s18, v2
	s_addc_u32 s21, s21, s15
	s_add_u32 s3, s4, s12
	v_add_co_ci_u32_e32 v5, vcc_lo, s19, v3, vcc_lo
	s_addc_u32 s4, s5, s13
	s_add_u32 s5, s22, s14
	v_cmp_gt_i32_e32 vcc_lo, s9, v6
	s_addc_u32 s14, s23, s15
	s_add_u32 s1, s6, s12
	s_addc_u32 s2, s7, s13
	s_add_i32 s6, s9, -1
	global_load_b64 v[4:5], v[4:5], off
	v_cndmask_b32_e32 v6, s6, v6, vcc_lo
	s_delay_alu instid0(VALU_DEP_1) | instskip(NEXT) | instid1(VALU_DEP_1)
	v_ashrrev_i32_e32 v7, 31, v6
	v_lshlrev_b64 v[6:7], 3, v[6:7]
	s_delay_alu instid0(VALU_DEP_1) | instskip(NEXT) | instid1(VALU_DEP_2)
	v_add_co_u32 v8, vcc_lo, s18, v6
	v_add_co_ci_u32_e32 v9, vcc_lo, s19, v7, vcc_lo
	v_add_co_u32 v10, vcc_lo, s16, v0
	v_add_co_ci_u32_e32 v11, vcc_lo, s17, v1, vcc_lo
	global_load_b64 v[8:9], v[8:9], off
	v_add_co_u32 v12, vcc_lo, s16, v2
	global_load_b64 v[10:11], v[10:11], off
	v_add_co_ci_u32_e32 v13, vcc_lo, s17, v3, vcc_lo
	v_add_co_u32 v14, vcc_lo, s20, v0
	v_add_co_ci_u32_e32 v15, vcc_lo, s21, v1, vcc_lo
	global_load_b64 v[12:13], v[12:13], off
	v_add_co_u32 v16, vcc_lo, s20, v2
	v_add_co_ci_u32_e32 v17, vcc_lo, s21, v3, vcc_lo
	v_add_co_u32 v2, vcc_lo, s5, v2
	v_add_co_ci_u32_e32 v3, vcc_lo, s14, v3, vcc_lo
	s_clause 0x1
	global_load_b64 v[14:15], v[14:15], off
	global_load_b64 v[16:17], v[16:17], off
	;; [unrolled: 1-line block ×3, first 2 shown]
	v_add_co_u32 v18, vcc_lo, s18, v0
	v_add_co_ci_u32_e32 v19, vcc_lo, s19, v1, vcc_lo
	v_add_co_u32 v20, vcc_lo, s5, v0
	v_add_co_ci_u32_e32 v21, vcc_lo, s14, v1, vcc_lo
	;; [unrolled: 2-line block ×5, first 2 shown]
	global_load_b64 v[18:19], v[18:19], off
	global_load_b64 v[20:21], v[20:21], off
	;; [unrolled: 1-line block ×5, first 2 shown]
	s_waitcnt vmcnt(11)
	v_mul_f32_e32 v32, v5, v5
	s_waitcnt vmcnt(10)
	s_delay_alu instid0(VALU_DEP_1) | instskip(SKIP_3) | instid1(VALU_DEP_3)
	v_dual_fmac_f32 v32, v4, v4 :: v_dual_mul_f32 v35, v9, v9
	s_waitcnt vmcnt(9)
	v_mul_f32_e64 v40, v5, -v10
	v_mul_f32_e32 v5, v5, v11
	v_div_scale_f32 v33, null, v32, v32, 1.0
	v_fmac_f32_e32 v35, v8, v8
	v_div_scale_f32 v36, vcc_lo, 1.0, v32, 1.0
	s_delay_alu instid0(VALU_DEP_3) | instskip(SKIP_1) | instid1(VALU_DEP_3)
	v_rcp_f32_e32 v34, v33
	v_fmac_f32_e32 v40, v11, v4
	v_div_scale_f32 v38, null, v35, v35, 1.0
	v_fmac_f32_e32 v5, v10, v4
	s_delay_alu instid0(VALU_DEP_2) | instskip(SKIP_2) | instid1(VALU_DEP_1)
	v_rcp_f32_e32 v39, v38
	s_waitcnt_depctr 0xfff
	v_fma_f32 v26, -v33, v34, 1.0
	v_fmac_f32_e32 v34, v26, v34
	v_add_co_u32 v26, s0, s0, v0
	s_delay_alu instid0(VALU_DEP_1) | instskip(NEXT) | instid1(VALU_DEP_3)
	v_add_co_ci_u32_e64 v27, s0, s8, v1, s0
	v_mul_f32_e32 v37, v36, v34
	v_add_co_u32 v28, s0, s10, v0
	s_delay_alu instid0(VALU_DEP_1) | instskip(NEXT) | instid1(VALU_DEP_3)
	v_add_co_ci_u32_e64 v29, s0, s11, v1, s0
	v_fma_f32 v30, -v33, v37, v36
	s_delay_alu instid0(VALU_DEP_1) | instskip(SKIP_1) | instid1(VALU_DEP_1)
	v_fmac_f32_e32 v37, v30, v34
	v_add_co_u32 v30, s0, s3, v0
	v_add_co_ci_u32_e64 v31, s0, s4, v1, s0
	s_delay_alu instid0(VALU_DEP_3) | instskip(SKIP_2) | instid1(VALU_DEP_2)
	v_fma_f32 v33, -v33, v37, v36
	v_fma_f32 v36, -v38, v39, 1.0
	v_div_scale_f32 v41, s0, 1.0, v35, 1.0
	v_fmac_f32_e32 v39, v36, v39
	s_delay_alu instid0(VALU_DEP_4) | instskip(SKIP_2) | instid1(VALU_DEP_4)
	v_div_fmas_f32 v33, v33, v34, v37
	v_add_co_u32 v0, vcc_lo, s1, v0
	v_add_co_ci_u32_e32 v1, vcc_lo, s2, v1, vcc_lo
	v_mul_f32_e32 v34, v41, v39
	s_delay_alu instid0(VALU_DEP_4)
	v_div_fixup_f32 v11, v33, v32, 1.0
	s_waitcnt vmcnt(7)
	v_mul_f32_e32 v32, v9, v15
	v_mul_f32_e64 v9, v9, -v14
	s_mov_b32 vcc_lo, s0
	v_fma_f32 v33, -v38, v34, v41
	v_dual_mul_f32 v4, v40, v11 :: v_dual_mul_f32 v5, v11, v5
	s_delay_alu instid0(VALU_DEP_3) | instskip(SKIP_2) | instid1(VALU_DEP_3)
	v_fmac_f32_e32 v9, v15, v8
	v_fmac_f32_e32 v32, v14, v8
	s_waitcnt vmcnt(5)
	v_mul_f32_e64 v11, v4, -v3
	v_fmac_f32_e32 v34, v33, v39
	v_mul_f32_e64 v8, v4, -v17
	v_mul_f32_e32 v15, v4, v2
	s_delay_alu instid0(VALU_DEP_4) | instskip(NEXT) | instid1(VALU_DEP_4)
	v_dual_mul_f32 v10, v4, v16 :: v_dual_fmac_f32 v11, v2, v5
	v_fma_f32 v14, -v38, v34, v41
	v_mul_f32_e32 v33, v4, v13
	s_delay_alu instid0(VALU_DEP_4)
	v_fmac_f32_e32 v15, v3, v5
	v_mul_f32_e64 v4, v4, -v12
	v_fmac_f32_e32 v10, v17, v5
	v_div_fmas_f32 v14, v14, v39, v34
	v_fma_f32 v2, -v12, v5, v33
	v_fmac_f32_e32 v8, v16, v5
	v_fma_f32 v3, -v13, v5, v4
	s_delay_alu instid0(VALU_DEP_4) | instskip(NEXT) | instid1(VALU_DEP_1)
	v_div_fixup_f32 v14, v14, v35, 1.0
	v_mul_f32_e32 v12, v14, v32
	v_mul_f32_e32 v4, v9, v14
	s_waitcnt vmcnt(3)
	v_dual_sub_f32 v9, v19, v10 :: v_dual_sub_f32 v10, v20, v11
	v_sub_f32_e32 v11, v21, v15
	v_sub_f32_e32 v5, v18, v8
	s_waitcnt vmcnt(1)
	v_mul_f32_e32 v15, v4, v22
	s_delay_alu instid0(VALU_DEP_1) | instskip(SKIP_4) | instid1(VALU_DEP_3)
	v_fmac_f32_e32 v15, v23, v12
	v_mul_f32_e64 v8, v4, -v25
	v_mul_f32_e64 v14, v4, -v23
	s_waitcnt vmcnt(0)
	v_mul_f32_e64 v17, v4, -v6
	v_fmac_f32_e32 v8, v24, v12
	s_delay_alu instid0(VALU_DEP_3) | instskip(SKIP_1) | instid1(VALU_DEP_3)
	v_dual_fmac_f32 v14, v22, v12 :: v_dual_sub_f32 v11, v11, v15
	v_mul_f32_e32 v13, v4, v24
	v_sub_f32_e32 v8, v5, v8
	v_fma_f32 v5, -v7, v12, v17
	s_delay_alu instid0(VALU_DEP_3) | instskip(NEXT) | instid1(VALU_DEP_1)
	v_dual_fmac_f32 v13, v25, v12 :: v_dual_sub_f32 v10, v10, v14
	v_dual_mul_f32 v16, v4, v7 :: v_dual_sub_f32 v9, v9, v13
	s_delay_alu instid0(VALU_DEP_1)
	v_fma_f32 v4, -v6, v12, v16
	global_store_b64 v[26:27], v[2:3], off
	global_store_b64 v[28:29], v[8:9], off
	global_store_b64 v[0:1], v[10:11], off
	global_store_b64 v[30:31], v[4:5], off
.LBB61_2:
	s_nop 0
	s_sendmsg sendmsg(MSG_DEALLOC_VGPRS)
	s_endpgm
	.section	.rodata,"a",@progbits
	.p2align	6, 0x0
	.amdhsa_kernel _ZN9rocsparseL44gtsv_nopivot_strided_batch_pcr_stage1_kernelILj256E21rocsparse_complex_numIfEEEviiiiPKT0_S5_S5_S5_PS3_S6_S6_S6_
		.amdhsa_group_segment_fixed_size 0
		.amdhsa_private_segment_fixed_size 0
		.amdhsa_kernarg_size 80
		.amdhsa_user_sgpr_count 14
		.amdhsa_user_sgpr_dispatch_ptr 0
		.amdhsa_user_sgpr_queue_ptr 0
		.amdhsa_user_sgpr_kernarg_segment_ptr 1
		.amdhsa_user_sgpr_dispatch_id 0
		.amdhsa_user_sgpr_private_segment_size 0
		.amdhsa_wavefront_size32 1
		.amdhsa_uses_dynamic_stack 0
		.amdhsa_enable_private_segment 0
		.amdhsa_system_sgpr_workgroup_id_x 1
		.amdhsa_system_sgpr_workgroup_id_y 1
		.amdhsa_system_sgpr_workgroup_id_z 0
		.amdhsa_system_sgpr_workgroup_info 0
		.amdhsa_system_vgpr_workitem_id 0
		.amdhsa_next_free_vgpr 42
		.amdhsa_next_free_sgpr 24
		.amdhsa_reserve_vcc 1
		.amdhsa_float_round_mode_32 0
		.amdhsa_float_round_mode_16_64 0
		.amdhsa_float_denorm_mode_32 3
		.amdhsa_float_denorm_mode_16_64 3
		.amdhsa_dx10_clamp 1
		.amdhsa_ieee_mode 1
		.amdhsa_fp16_overflow 0
		.amdhsa_workgroup_processor_mode 1
		.amdhsa_memory_ordered 1
		.amdhsa_forward_progress 0
		.amdhsa_shared_vgpr_count 0
		.amdhsa_exception_fp_ieee_invalid_op 0
		.amdhsa_exception_fp_denorm_src 0
		.amdhsa_exception_fp_ieee_div_zero 0
		.amdhsa_exception_fp_ieee_overflow 0
		.amdhsa_exception_fp_ieee_underflow 0
		.amdhsa_exception_fp_ieee_inexact 0
		.amdhsa_exception_int_div_zero 0
	.end_amdhsa_kernel
	.section	.text._ZN9rocsparseL44gtsv_nopivot_strided_batch_pcr_stage1_kernelILj256E21rocsparse_complex_numIfEEEviiiiPKT0_S5_S5_S5_PS3_S6_S6_S6_,"axG",@progbits,_ZN9rocsparseL44gtsv_nopivot_strided_batch_pcr_stage1_kernelILj256E21rocsparse_complex_numIfEEEviiiiPKT0_S5_S5_S5_PS3_S6_S6_S6_,comdat
.Lfunc_end61:
	.size	_ZN9rocsparseL44gtsv_nopivot_strided_batch_pcr_stage1_kernelILj256E21rocsparse_complex_numIfEEEviiiiPKT0_S5_S5_S5_PS3_S6_S6_S6_, .Lfunc_end61-_ZN9rocsparseL44gtsv_nopivot_strided_batch_pcr_stage1_kernelILj256E21rocsparse_complex_numIfEEEviiiiPKT0_S5_S5_S5_PS3_S6_S6_S6_
                                        ; -- End function
	.section	.AMDGPU.csdata,"",@progbits
; Kernel info:
; codeLenInByte = 1084
; NumSgprs: 26
; NumVgprs: 42
; ScratchSize: 0
; MemoryBound: 0
; FloatMode: 240
; IeeeMode: 1
; LDSByteSize: 0 bytes/workgroup (compile time only)
; SGPRBlocks: 3
; VGPRBlocks: 5
; NumSGPRsForWavesPerEU: 26
; NumVGPRsForWavesPerEU: 42
; Occupancy: 16
; WaveLimiterHint : 0
; COMPUTE_PGM_RSRC2:SCRATCH_EN: 0
; COMPUTE_PGM_RSRC2:USER_SGPR: 14
; COMPUTE_PGM_RSRC2:TRAP_HANDLER: 0
; COMPUTE_PGM_RSRC2:TGID_X_EN: 1
; COMPUTE_PGM_RSRC2:TGID_Y_EN: 1
; COMPUTE_PGM_RSRC2:TGID_Z_EN: 0
; COMPUTE_PGM_RSRC2:TIDIG_COMP_CNT: 0
	.section	.text._ZN9rocsparseL44gtsv_nopivot_strided_batch_pcr_stage2_kernelILj512E21rocsparse_complex_numIfEEEviiiPKT0_S5_S5_S5_PS3_,"axG",@progbits,_ZN9rocsparseL44gtsv_nopivot_strided_batch_pcr_stage2_kernelILj512E21rocsparse_complex_numIfEEEviiiPKT0_S5_S5_S5_PS3_,comdat
	.globl	_ZN9rocsparseL44gtsv_nopivot_strided_batch_pcr_stage2_kernelILj512E21rocsparse_complex_numIfEEEviiiPKT0_S5_S5_S5_PS3_ ; -- Begin function _ZN9rocsparseL44gtsv_nopivot_strided_batch_pcr_stage2_kernelILj512E21rocsparse_complex_numIfEEEviiiPKT0_S5_S5_S5_PS3_
	.p2align	8
	.type	_ZN9rocsparseL44gtsv_nopivot_strided_batch_pcr_stage2_kernelILj512E21rocsparse_complex_numIfEEEviiiPKT0_S5_S5_S5_PS3_,@function
_ZN9rocsparseL44gtsv_nopivot_strided_batch_pcr_stage2_kernelILj512E21rocsparse_complex_numIfEEEviiiPKT0_S5_S5_S5_PS3_: ; @_ZN9rocsparseL44gtsv_nopivot_strided_batch_pcr_stage2_kernelILj512E21rocsparse_complex_numIfEEEviiiPKT0_S5_S5_S5_PS3_
; %bb.0:
	s_clause 0x2
	s_load_b32 s2, s[0:1], 0x38
	s_load_b32 s3, s[0:1], 0x0
	s_load_b256 s[4:11], s[0:1], 0x10
	v_mov_b32_e32 v3, 0
	s_waitcnt lgkmcnt(0)
	v_mad_u64_u32 v[1:2], null, s2, v0, s[14:15]
	s_mul_i32 s12, s15, s3
	s_add_i32 s13, s14, s3
	s_delay_alu instid0(SALU_CYCLE_1) | instskip(NEXT) | instid1(VALU_DEP_1)
	s_add_i32 s13, s13, s12
	v_add_nc_u32_e32 v2, s12, v1
	s_sub_i32 s12, s13, s2
	v_cmp_gt_i32_e64 s2, s3, v1
	s_delay_alu instid0(VALU_DEP_1) | instskip(NEXT) | instid1(VALU_DEP_1)
	v_cndmask_b32_e64 v2, s12, v2, s2
	v_lshlrev_b64 v[2:3], 3, v[2:3]
	s_delay_alu instid0(VALU_DEP_1) | instskip(NEXT) | instid1(VALU_DEP_2)
	v_add_co_u32 v4, vcc_lo, s4, v2
	v_add_co_ci_u32_e32 v5, vcc_lo, s5, v3, vcc_lo
	v_add_co_u32 v6, vcc_lo, s6, v2
	v_add_co_ci_u32_e32 v7, vcc_lo, s7, v3, vcc_lo
	;; [unrolled: 2-line block ×4, first 2 shown]
	global_load_b64 v[10:11], v[4:5], off
	global_load_b64 v[6:7], v[6:7], off
	global_load_b64 v[8:9], v[8:9], off
	global_load_b64 v[12:13], v[2:3], off
	s_load_b64 s[4:5], s[0:1], 0x30
	v_lshlrev_b32_e32 v2, 3, v0
	s_mov_b32 s6, 1
	s_mov_b32 s7, 8
	s_waitcnt vmcnt(2)
	ds_store_2addr_stride64_b64 v2, v[10:11], v[6:7] offset1:8
	s_waitcnt vmcnt(0)
	ds_store_2addr_stride64_b64 v2, v[8:9], v[12:13] offset0:16 offset1:32
	v_or_b32_e32 v5, 0x1000, v2
	v_or_b32_e32 v4, 0x2000, v2
	;; [unrolled: 1-line block ×3, first 2 shown]
	s_waitcnt lgkmcnt(0)
	s_barrier
	buffer_gl0_inv
.LBB62_1:                               ; =>This Inner Loop Header: Depth=1
	v_subrev_nc_u32_e32 v7, s6, v0
	ds_load_b64 v[22:23], v2
	ds_load_b64 v[24:25], v3
	;; [unrolled: 1-line block ×4, first 2 shown]
	v_add_nc_u32_e32 v6, s6, v0
	s_add_i32 s7, s7, -1
	s_lshl_b32 s6, s6, 1
	v_max_i32_e32 v7, 0, v7
	s_cmp_eq_u32 s7, 0
	v_min_u32_e32 v6, 0x1ff, v6
	s_delay_alu instid0(VALU_DEP_2) | instskip(NEXT) | instid1(VALU_DEP_2)
	v_lshlrev_b32_e32 v14, 3, v7
	v_lshlrev_b32_e32 v18, 3, v6
	ds_load_2addr_stride64_b64 v[6:9], v14 offset1:8
	ds_load_2addr_stride64_b64 v[10:13], v18 offset1:8
	ds_load_2addr_stride64_b64 v[14:17], v14 offset0:16 offset1:32
	ds_load_2addr_stride64_b64 v[18:21], v18 offset0:16 offset1:32
	s_waitcnt lgkmcnt(0)
	s_barrier
	buffer_gl0_inv
	v_mul_f32_e32 v31, v9, v23
	v_mul_f32_e32 v33, v13, v27
	v_mul_f32_e32 v32, v13, v13
	v_mul_f32_e32 v30, v9, v9
	v_mul_f32_e64 v9, v9, -v22
	v_mul_f32_e64 v13, v13, -v26
	v_fmac_f32_e32 v33, v26, v12
	v_fmac_f32_e32 v32, v12, v12
	;; [unrolled: 1-line block ×5, first 2 shown]
	s_delay_alu instid0(VALU_DEP_4) | instskip(SKIP_1) | instid1(VALU_DEP_2)
	v_div_scale_f32 v22, null, v32, v32, 1.0
	v_div_scale_f32 v23, s3, 1.0, v32, 1.0
	v_rcp_f32_e32 v27, v22
	s_waitcnt_depctr 0xfff
	v_fma_f32 v35, -v22, v27, 1.0
	s_delay_alu instid0(VALU_DEP_1) | instskip(NEXT) | instid1(VALU_DEP_1)
	v_dual_fmac_f32 v30, v8, v8 :: v_dual_fmac_f32 v27, v35, v27
	v_div_scale_f32 v8, null, v30, v30, 1.0
	v_div_scale_f32 v12, vcc_lo, 1.0, v30, 1.0
	s_delay_alu instid0(VALU_DEP_3) | instskip(NEXT) | instid1(VALU_DEP_3)
	v_mul_f32_e32 v35, v23, v27
	v_rcp_f32_e32 v26, v8
	s_delay_alu instid0(VALU_DEP_1) | instskip(NEXT) | instid1(VALU_DEP_1)
	v_fma_f32 v37, -v22, v35, v23
	v_fmac_f32_e32 v35, v37, v27
	s_waitcnt_depctr 0xfff
	v_fma_f32 v34, -v8, v26, 1.0
	s_delay_alu instid0(VALU_DEP_1) | instskip(NEXT) | instid1(VALU_DEP_1)
	v_fmac_f32_e32 v26, v34, v26
	v_mul_f32_e32 v34, v12, v26
	s_delay_alu instid0(VALU_DEP_1) | instskip(NEXT) | instid1(VALU_DEP_1)
	v_fma_f32 v36, -v8, v34, v12
	v_fmac_f32_e32 v34, v36, v26
	s_delay_alu instid0(VALU_DEP_1) | instskip(SKIP_1) | instid1(VALU_DEP_2)
	v_fma_f32 v8, -v8, v34, v12
	v_fma_f32 v12, -v22, v35, v23
	v_div_fmas_f32 v8, v8, v26, v34
	s_mov_b32 vcc_lo, s3
	s_delay_alu instid0(VALU_DEP_2) | instskip(NEXT) | instid1(VALU_DEP_2)
	v_div_fmas_f32 v12, v12, v27, v35
	v_div_fixup_f32 v8, v8, v30, 1.0
	s_delay_alu instid0(VALU_DEP_2) | instskip(NEXT) | instid1(VALU_DEP_2)
	v_div_fixup_f32 v12, v12, v32, 1.0
	v_dual_mul_f32 v9, v9, v8 :: v_dual_mul_f32 v8, v8, v31
	s_delay_alu instid0(VALU_DEP_1)
	v_dual_mul_f32 v22, v12, v33 :: v_dual_mul_f32 v27, v9, v16
	v_mul_f32_e32 v12, v13, v12
	v_mul_f32_e64 v13, v9, -v15
	v_mul_f32_e32 v23, v9, v14
	v_mul_f32_e64 v26, v9, -v17
	;; [unrolled: 2-line block ×3, first 2 shown]
	v_fmac_f32_e32 v13, v14, v8
	v_fmac_f32_e32 v23, v15, v8
	v_mul_f32_e64 v9, v9, -v6
	v_fmac_f32_e32 v27, v17, v8
	v_fmac_f32_e32 v31, v10, v22
	v_mul_f32_e32 v32, v12, v10
	v_mul_f32_e64 v33, v12, -v21
	v_mul_f32_e32 v34, v12, v20
	v_mul_f32_e32 v35, v12, v19
	v_mul_f32_e64 v12, v12, -v18
	v_fmac_f32_e32 v32, v11, v22
	v_sub_f32_e32 v10, v28, v13
	v_dual_fmac_f32 v26, v16, v8 :: v_dual_sub_f32 v13, v25, v27
	v_sub_f32_e32 v11, v29, v23
	v_fma_f32 v7, -v7, v8, v9
	s_delay_alu instid0(VALU_DEP_4) | instskip(NEXT) | instid1(VALU_DEP_3)
	v_dual_fmac_f32 v33, v20, v22 :: v_dual_sub_f32 v10, v10, v31
	v_dual_fmac_f32 v34, v21, v22 :: v_dual_sub_f32 v11, v11, v32
	v_fma_f32 v9, -v19, v22, v12
	v_sub_f32_e32 v12, v24, v26
	v_fma_f32 v6, -v6, v8, v30
	s_delay_alu instid0(VALU_DEP_4) | instskip(SKIP_1) | instid1(VALU_DEP_4)
	v_sub_f32_e32 v13, v13, v34
	v_fma_f32 v8, -v18, v22, v35
	v_sub_f32_e32 v12, v12, v33
	ds_store_b64 v5, v[10:11]
	ds_store_b64 v2, v[6:7]
	;; [unrolled: 1-line block ×4, first 2 shown]
	s_waitcnt lgkmcnt(0)
	s_barrier
	buffer_gl0_inv
	s_cbranch_scc0 .LBB62_1
; %bb.2:
	s_mov_b32 s3, exec_lo
	v_cmpx_gt_u32_e32 0x100, v0
	s_cbranch_execz .LBB62_4
; %bb.3:
	ds_load_2addr_stride64_b64 v[5:8], v5 offset1:4
	ds_load_b64 v[13:14], v4
	ds_load_b64 v[15:16], v2 offset:2048
	s_waitcnt lgkmcnt(2)
	v_mul_f32_e64 v9, v6, -v8
	v_mul_f32_e32 v0, v6, v7
	s_waitcnt lgkmcnt(0)
	v_mul_f32_e32 v4, v16, v13
	v_mul_f32_e64 v10, v16, -v14
	v_fmac_f32_e32 v9, v7, v5
	v_fmac_f32_e32 v0, v8, v5
	s_delay_alu instid0(VALU_DEP_4) | instskip(NEXT) | instid1(VALU_DEP_1)
	v_fmac_f32_e32 v4, v14, v15
	v_sub_f32_e32 v0, v0, v4
	s_delay_alu instid0(VALU_DEP_1) | instskip(NEXT) | instid1(VALU_DEP_1)
	v_dual_mul_f32 v17, v0, v0 :: v_dual_fmac_f32 v10, v13, v15
	v_sub_f32_e32 v4, v9, v10
	ds_load_2addr_stride64_b64 v[9:12], v3 offset1:4
	v_fmac_f32_e32 v17, v4, v4
	s_delay_alu instid0(VALU_DEP_1) | instskip(SKIP_1) | instid1(VALU_DEP_2)
	v_div_scale_f32 v18, null, v17, v17, 1.0
	v_div_scale_f32 v20, vcc_lo, 1.0, v17, 1.0
	v_rcp_f32_e32 v19, v18
	s_waitcnt lgkmcnt(0)
	v_mul_f32_e64 v21, v10, -v8
	v_mul_f32_e32 v23, v10, v7
	v_mul_f32_e64 v24, v12, -v14
	v_mul_f32_e32 v25, v12, v13
	s_waitcnt_depctr 0xfff
	v_fma_f32 v3, -v18, v19, 1.0
	v_fmac_f32_e32 v21, v7, v9
	v_mul_f32_e64 v26, v6, -v12
	v_fmac_f32_e32 v24, v13, v11
	v_mul_f32_e32 v6, v6, v11
	v_fmac_f32_e32 v19, v3, v19
	s_delay_alu instid0(VALU_DEP_4) | instskip(NEXT) | instid1(VALU_DEP_2)
	v_dual_fmac_f32 v25, v14, v11 :: v_dual_fmac_f32 v26, v11, v5
	v_mul_f32_e32 v3, v20, v19
	s_delay_alu instid0(VALU_DEP_1) | instskip(NEXT) | instid1(VALU_DEP_1)
	v_fma_f32 v22, -v18, v3, v20
	v_fmac_f32_e32 v3, v22, v19
	v_mul_f32_e64 v22, v16, -v10
	v_mul_f32_e32 v16, v16, v9
	v_fmac_f32_e32 v23, v8, v9
	s_delay_alu instid0(VALU_DEP_4) | instskip(NEXT) | instid1(VALU_DEP_4)
	v_fma_f32 v7, -v18, v3, v20
	v_fmac_f32_e32 v22, v9, v15
	s_delay_alu instid0(VALU_DEP_4) | instskip(SKIP_1) | instid1(VALU_DEP_4)
	v_dual_fmac_f32 v16, v10, v15 :: v_dual_sub_f32 v9, v21, v24
	v_fmac_f32_e32 v6, v12, v5
	v_div_fmas_f32 v3, v7, v19, v3
	s_delay_alu instid0(VALU_DEP_4)
	v_sub_f32_e32 v11, v26, v22
	v_fma_f32 v5, v4, 0, -v0
	v_fma_f32 v0, 0, v0, v4
	v_sub_f32_e32 v7, v23, v25
	v_div_fixup_f32 v3, v3, v17, 1.0
	v_sub_f32_e32 v10, v6, v16
	s_delay_alu instid0(VALU_DEP_2) | instskip(SKIP_1) | instid1(VALU_DEP_1)
	v_mul_f32_e32 v0, v0, v3
	v_mul_f32_e32 v8, v5, v3
	v_mul_f32_e64 v5, v8, -v10
	s_delay_alu instid0(VALU_DEP_1) | instskip(SKIP_2) | instid1(VALU_DEP_2)
	v_fmac_f32_e32 v5, v11, v0
	v_mul_f32_e64 v3, v8, -v7
	v_mul_f32_e32 v4, v9, v8
	v_dual_mul_f32 v6, v8, v11 :: v_dual_fmac_f32 v3, v9, v0
	s_delay_alu instid0(VALU_DEP_2) | instskip(NEXT) | instid1(VALU_DEP_2)
	v_fmac_f32_e32 v4, v7, v0
	v_fmac_f32_e32 v6, v10, v0
	ds_store_2addr_stride64_b64 v2, v[3:4], v[5:6] offset0:24 offset1:28
.LBB62_4:
	s_or_b32 exec_lo, exec_lo, s3
	s_waitcnt lgkmcnt(0)
	s_barrier
	buffer_gl0_inv
	s_and_saveexec_b32 s3, s2
	s_cbranch_execz .LBB62_6
; %bb.5:
	s_load_b32 s0, s[0:1], 0x8
	s_waitcnt lgkmcnt(0)
	v_mad_u64_u32 v[3:4], null, s15, s0, v[1:2]
	ds_load_b64 v[0:1], v2 offset:12288
	v_mov_b32_e32 v4, 0
	s_delay_alu instid0(VALU_DEP_1) | instskip(NEXT) | instid1(VALU_DEP_1)
	v_lshlrev_b64 v[2:3], 3, v[3:4]
	v_add_co_u32 v2, vcc_lo, s4, v2
	s_delay_alu instid0(VALU_DEP_2)
	v_add_co_ci_u32_e32 v3, vcc_lo, s5, v3, vcc_lo
	s_waitcnt lgkmcnt(0)
	global_store_b64 v[2:3], v[0:1], off
.LBB62_6:
	s_nop 0
	s_sendmsg sendmsg(MSG_DEALLOC_VGPRS)
	s_endpgm
	.section	.rodata,"a",@progbits
	.p2align	6, 0x0
	.amdhsa_kernel _ZN9rocsparseL44gtsv_nopivot_strided_batch_pcr_stage2_kernelILj512E21rocsparse_complex_numIfEEEviiiPKT0_S5_S5_S5_PS3_
		.amdhsa_group_segment_fixed_size 20480
		.amdhsa_private_segment_fixed_size 0
		.amdhsa_kernarg_size 312
		.amdhsa_user_sgpr_count 14
		.amdhsa_user_sgpr_dispatch_ptr 0
		.amdhsa_user_sgpr_queue_ptr 0
		.amdhsa_user_sgpr_kernarg_segment_ptr 1
		.amdhsa_user_sgpr_dispatch_id 0
		.amdhsa_user_sgpr_private_segment_size 0
		.amdhsa_wavefront_size32 1
		.amdhsa_uses_dynamic_stack 0
		.amdhsa_enable_private_segment 0
		.amdhsa_system_sgpr_workgroup_id_x 1
		.amdhsa_system_sgpr_workgroup_id_y 1
		.amdhsa_system_sgpr_workgroup_id_z 0
		.amdhsa_system_sgpr_workgroup_info 0
		.amdhsa_system_vgpr_workitem_id 0
		.amdhsa_next_free_vgpr 38
		.amdhsa_next_free_sgpr 16
		.amdhsa_reserve_vcc 1
		.amdhsa_float_round_mode_32 0
		.amdhsa_float_round_mode_16_64 0
		.amdhsa_float_denorm_mode_32 3
		.amdhsa_float_denorm_mode_16_64 3
		.amdhsa_dx10_clamp 1
		.amdhsa_ieee_mode 1
		.amdhsa_fp16_overflow 0
		.amdhsa_workgroup_processor_mode 1
		.amdhsa_memory_ordered 1
		.amdhsa_forward_progress 0
		.amdhsa_shared_vgpr_count 0
		.amdhsa_exception_fp_ieee_invalid_op 0
		.amdhsa_exception_fp_denorm_src 0
		.amdhsa_exception_fp_ieee_div_zero 0
		.amdhsa_exception_fp_ieee_overflow 0
		.amdhsa_exception_fp_ieee_underflow 0
		.amdhsa_exception_fp_ieee_inexact 0
		.amdhsa_exception_int_div_zero 0
	.end_amdhsa_kernel
	.section	.text._ZN9rocsparseL44gtsv_nopivot_strided_batch_pcr_stage2_kernelILj512E21rocsparse_complex_numIfEEEviiiPKT0_S5_S5_S5_PS3_,"axG",@progbits,_ZN9rocsparseL44gtsv_nopivot_strided_batch_pcr_stage2_kernelILj512E21rocsparse_complex_numIfEEEviiiPKT0_S5_S5_S5_PS3_,comdat
.Lfunc_end62:
	.size	_ZN9rocsparseL44gtsv_nopivot_strided_batch_pcr_stage2_kernelILj512E21rocsparse_complex_numIfEEEviiiPKT0_S5_S5_S5_PS3_, .Lfunc_end62-_ZN9rocsparseL44gtsv_nopivot_strided_batch_pcr_stage2_kernelILj512E21rocsparse_complex_numIfEEEviiiPKT0_S5_S5_S5_PS3_
                                        ; -- End function
	.section	.AMDGPU.csdata,"",@progbits
; Kernel info:
; codeLenInByte = 1400
; NumSgprs: 18
; NumVgprs: 38
; ScratchSize: 0
; MemoryBound: 0
; FloatMode: 240
; IeeeMode: 1
; LDSByteSize: 20480 bytes/workgroup (compile time only)
; SGPRBlocks: 2
; VGPRBlocks: 4
; NumSGPRsForWavesPerEU: 18
; NumVGPRsForWavesPerEU: 38
; Occupancy: 16
; WaveLimiterHint : 0
; COMPUTE_PGM_RSRC2:SCRATCH_EN: 0
; COMPUTE_PGM_RSRC2:USER_SGPR: 14
; COMPUTE_PGM_RSRC2:TRAP_HANDLER: 0
; COMPUTE_PGM_RSRC2:TGID_X_EN: 1
; COMPUTE_PGM_RSRC2:TGID_Y_EN: 1
; COMPUTE_PGM_RSRC2:TGID_Z_EN: 0
; COMPUTE_PGM_RSRC2:TIDIG_COMP_CNT: 0
	.section	.text._ZN9rocsparseL49gtsv_nopivot_strided_batch_pcr_pow2_shared_kernelILj2E21rocsparse_complex_numIdEEEviiiPKT0_S5_S5_PS3_,"axG",@progbits,_ZN9rocsparseL49gtsv_nopivot_strided_batch_pcr_pow2_shared_kernelILj2E21rocsparse_complex_numIdEEEviiiPKT0_S5_S5_PS3_,comdat
	.globl	_ZN9rocsparseL49gtsv_nopivot_strided_batch_pcr_pow2_shared_kernelILj2E21rocsparse_complex_numIdEEEviiiPKT0_S5_S5_PS3_ ; -- Begin function _ZN9rocsparseL49gtsv_nopivot_strided_batch_pcr_pow2_shared_kernelILj2E21rocsparse_complex_numIdEEEviiiPKT0_S5_S5_PS3_
	.p2align	8
	.type	_ZN9rocsparseL49gtsv_nopivot_strided_batch_pcr_pow2_shared_kernelILj2E21rocsparse_complex_numIdEEEviiiPKT0_S5_S5_PS3_,@function
_ZN9rocsparseL49gtsv_nopivot_strided_batch_pcr_pow2_shared_kernelILj2E21rocsparse_complex_numIdEEEviiiPKT0_S5_S5_PS3_: ; @_ZN9rocsparseL49gtsv_nopivot_strided_batch_pcr_pow2_shared_kernelILj2E21rocsparse_complex_numIdEEEviiiPKT0_S5_S5_PS3_
; %bb.0:
	s_clause 0x1
	s_load_b32 s8, s[0:1], 0x8
	s_load_b256 s[0:7], s[0:1], 0x10
	s_waitcnt lgkmcnt(0)
	v_mad_u64_u32 v[1:2], null, s15, s8, v[0:1]
	s_delay_alu instid0(VALU_DEP_1) | instskip(NEXT) | instid1(VALU_DEP_1)
	v_ashrrev_i32_e32 v2, 31, v1
	v_lshlrev_b64 v[1:2], 4, v[1:2]
	s_delay_alu instid0(VALU_DEP_1) | instskip(NEXT) | instid1(VALU_DEP_2)
	v_add_co_u32 v3, vcc_lo, s0, v1
	v_add_co_ci_u32_e32 v4, vcc_lo, s1, v2, vcc_lo
	v_add_co_u32 v8, vcc_lo, s2, v1
	v_add_co_ci_u32_e32 v9, vcc_lo, s3, v2, vcc_lo
	;; [unrolled: 2-line block ×4, first 2 shown]
	global_load_b128 v[4:7], v[3:4], off
	global_load_b128 v[8:11], v[8:9], off
	global_load_b128 v[12:15], v[12:13], off
	global_load_b128 v[16:19], v[1:2], off
	v_lshlrev_b32_e32 v3, 4, v0
	s_mov_b32 s0, exec_lo
	s_waitcnt vmcnt(3)
	ds_store_2addr_b64 v3, v[4:5], v[6:7] offset1:1
	s_waitcnt vmcnt(2)
	ds_store_2addr_b64 v3, v[8:9], v[10:11] offset0:6 offset1:7
	s_waitcnt vmcnt(1)
	ds_store_2addr_b64 v3, v[12:13], v[14:15] offset0:12 offset1:13
	;; [unrolled: 2-line block ×3, first 2 shown]
	s_waitcnt vmcnt(0) lgkmcnt(0)
	s_waitcnt_vscnt null, 0x0
	; wave barrier
	s_waitcnt lgkmcnt(0)
	buffer_gl0_inv
	v_cmpx_eq_u32_e32 0, v0
	s_cbranch_execz .LBB63_2
; %bb.1:
	v_mov_b32_e32 v0, 0
	v_add_nc_u32_e32 v8, 48, v3
	v_or_b32_e32 v12, 0x60, v3
	v_or_b32_e32 v20, 0xc0, v3
	ds_load_b128 v[4:7], v0 offset:64
	ds_load_b128 v[8:11], v8
	ds_load_b128 v[12:15], v12
	ds_load_b128 v[16:19], v0 offset:16
	ds_load_b128 v[20:23], v20
	ds_load_b128 v[24:27], v0 offset:208
	s_waitcnt lgkmcnt(4)
	v_mul_f64 v[28:29], v[10:11], v[4:5]
	v_mul_f64 v[32:33], v[10:11], -v[6:7]
	s_waitcnt lgkmcnt(2)
	v_mul_f64 v[30:31], v[18:19], v[12:13]
	v_mul_f64 v[34:35], v[18:19], -v[14:15]
	s_waitcnt lgkmcnt(1)
	v_mul_f64 v[42:43], v[4:5], v[22:23]
	s_waitcnt lgkmcnt(0)
	v_mul_f64 v[44:45], v[26:27], -v[14:15]
	v_mul_f64 v[46:47], v[12:13], v[26:27]
	v_mul_f64 v[48:49], v[10:11], -v[26:27]
	v_mul_f64 v[10:11], v[10:11], v[24:25]
	v_fma_f64 v[28:29], v[6:7], v[8:9], v[28:29]
	v_fma_f64 v[32:33], v[4:5], v[8:9], v[32:33]
	;; [unrolled: 1-line block ×8, first 2 shown]
	v_add_f64 v[28:29], v[28:29], -v[30:31]
	v_add_f64 v[30:31], v[32:33], -v[34:35]
	s_delay_alu instid0(VALU_DEP_2) | instskip(NEXT) | instid1(VALU_DEP_1)
	v_mul_f64 v[32:33], v[28:29], v[28:29]
	v_fma_f64 v[32:33], v[30:31], v[30:31], v[32:33]
	s_delay_alu instid0(VALU_DEP_1) | instskip(SKIP_1) | instid1(VALU_DEP_2)
	v_div_scale_f64 v[34:35], null, v[32:33], v[32:33], 1.0
	v_div_scale_f64 v[40:41], vcc_lo, 1.0, v[32:33], 1.0
	v_rcp_f64_e32 v[36:37], v[34:35]
	s_waitcnt_depctr 0xfff
	v_fma_f64 v[38:39], -v[34:35], v[36:37], 1.0
	s_delay_alu instid0(VALU_DEP_1) | instskip(NEXT) | instid1(VALU_DEP_1)
	v_fma_f64 v[36:37], v[36:37], v[38:39], v[36:37]
	v_fma_f64 v[38:39], -v[34:35], v[36:37], 1.0
	s_delay_alu instid0(VALU_DEP_1) | instskip(NEXT) | instid1(VALU_DEP_1)
	v_fma_f64 v[36:37], v[36:37], v[38:39], v[36:37]
	v_mul_f64 v[38:39], v[40:41], v[36:37]
	s_delay_alu instid0(VALU_DEP_1) | instskip(SKIP_2) | instid1(VALU_DEP_3)
	v_fma_f64 v[34:35], -v[34:35], v[38:39], v[40:41]
	v_mul_f64 v[40:41], v[22:23], -v[6:7]
	v_fma_f64 v[6:7], v[6:7], v[20:21], v[42:43]
	v_div_fmas_f64 v[34:35], v[34:35], v[36:37], v[38:39]
	v_mul_f64 v[36:37], v[18:19], v[20:21]
	v_mul_f64 v[18:19], v[18:19], -v[22:23]
	v_fma_f64 v[4:5], v[4:5], v[20:21], v[40:41]
	v_fma_f64 v[38:39], v[30:31], 0, -v[28:29]
	v_add_f64 v[6:7], v[6:7], -v[14:15]
	v_fma_f64 v[14:15], v[28:29], 0, v[30:31]
	v_div_fixup_f64 v[32:33], v[34:35], v[32:33], 1.0
	v_fma_f64 v[10:11], v[22:23], v[16:17], v[36:37]
	v_fma_f64 v[16:17], v[20:21], v[16:17], v[18:19]
	v_add_f64 v[4:5], v[4:5], -v[12:13]
	s_delay_alu instid0(VALU_DEP_4) | instskip(NEXT) | instid1(VALU_DEP_4)
	v_mul_f64 v[18:19], v[38:39], v[32:33]
	v_add_f64 v[10:11], v[8:9], -v[10:11]
	s_delay_alu instid0(VALU_DEP_4) | instskip(SKIP_1) | instid1(VALU_DEP_4)
	v_add_f64 v[8:9], v[24:25], -v[16:17]
	v_mul_f64 v[12:13], v[14:15], v[32:33]
	v_mul_f64 v[14:15], v[18:19], -v[6:7]
	v_mul_f64 v[16:17], v[18:19], v[4:5]
	v_mul_f64 v[20:21], v[18:19], -v[10:11]
	v_mul_f64 v[18:19], v[18:19], v[8:9]
	s_delay_alu instid0(VALU_DEP_4) | instskip(NEXT) | instid1(VALU_DEP_4)
	v_fma_f64 v[4:5], v[4:5], v[12:13], v[14:15]
	v_fma_f64 v[6:7], v[6:7], v[12:13], v[16:17]
	s_delay_alu instid0(VALU_DEP_4) | instskip(NEXT) | instid1(VALU_DEP_4)
	v_fma_f64 v[8:9], v[8:9], v[12:13], v[20:21]
	v_fma_f64 v[10:11], v[10:11], v[12:13], v[18:19]
	ds_store_b128 v0, v[4:7] offset:144
	ds_store_b128 v0, v[8:11] offset:160
.LBB63_2:
	s_or_b32 exec_lo, exec_lo, s0
	s_waitcnt vmcnt(0) lgkmcnt(0)
	s_waitcnt_vscnt null, 0x0
	; wave barrier
	s_waitcnt lgkmcnt(0)
	buffer_gl0_inv
	ds_load_2addr_b64 v[3:6], v3 offset0:18 offset1:19
	s_waitcnt lgkmcnt(0)
	global_store_b128 v[1:2], v[3:6], off
	s_nop 0
	s_sendmsg sendmsg(MSG_DEALLOC_VGPRS)
	s_endpgm
	.section	.rodata,"a",@progbits
	.p2align	6, 0x0
	.amdhsa_kernel _ZN9rocsparseL49gtsv_nopivot_strided_batch_pcr_pow2_shared_kernelILj2E21rocsparse_complex_numIdEEEviiiPKT0_S5_S5_PS3_
		.amdhsa_group_segment_fixed_size 240
		.amdhsa_private_segment_fixed_size 0
		.amdhsa_kernarg_size 48
		.amdhsa_user_sgpr_count 15
		.amdhsa_user_sgpr_dispatch_ptr 0
		.amdhsa_user_sgpr_queue_ptr 0
		.amdhsa_user_sgpr_kernarg_segment_ptr 1
		.amdhsa_user_sgpr_dispatch_id 0
		.amdhsa_user_sgpr_private_segment_size 0
		.amdhsa_wavefront_size32 1
		.amdhsa_uses_dynamic_stack 0
		.amdhsa_enable_private_segment 0
		.amdhsa_system_sgpr_workgroup_id_x 1
		.amdhsa_system_sgpr_workgroup_id_y 0
		.amdhsa_system_sgpr_workgroup_id_z 0
		.amdhsa_system_sgpr_workgroup_info 0
		.amdhsa_system_vgpr_workitem_id 0
		.amdhsa_next_free_vgpr 50
		.amdhsa_next_free_sgpr 16
		.amdhsa_reserve_vcc 1
		.amdhsa_float_round_mode_32 0
		.amdhsa_float_round_mode_16_64 0
		.amdhsa_float_denorm_mode_32 3
		.amdhsa_float_denorm_mode_16_64 3
		.amdhsa_dx10_clamp 1
		.amdhsa_ieee_mode 1
		.amdhsa_fp16_overflow 0
		.amdhsa_workgroup_processor_mode 1
		.amdhsa_memory_ordered 1
		.amdhsa_forward_progress 0
		.amdhsa_shared_vgpr_count 0
		.amdhsa_exception_fp_ieee_invalid_op 0
		.amdhsa_exception_fp_denorm_src 0
		.amdhsa_exception_fp_ieee_div_zero 0
		.amdhsa_exception_fp_ieee_overflow 0
		.amdhsa_exception_fp_ieee_underflow 0
		.amdhsa_exception_fp_ieee_inexact 0
		.amdhsa_exception_int_div_zero 0
	.end_amdhsa_kernel
	.section	.text._ZN9rocsparseL49gtsv_nopivot_strided_batch_pcr_pow2_shared_kernelILj2E21rocsparse_complex_numIdEEEviiiPKT0_S5_S5_PS3_,"axG",@progbits,_ZN9rocsparseL49gtsv_nopivot_strided_batch_pcr_pow2_shared_kernelILj2E21rocsparse_complex_numIdEEEviiiPKT0_S5_S5_PS3_,comdat
.Lfunc_end63:
	.size	_ZN9rocsparseL49gtsv_nopivot_strided_batch_pcr_pow2_shared_kernelILj2E21rocsparse_complex_numIdEEEviiiPKT0_S5_S5_PS3_, .Lfunc_end63-_ZN9rocsparseL49gtsv_nopivot_strided_batch_pcr_pow2_shared_kernelILj2E21rocsparse_complex_numIdEEEviiiPKT0_S5_S5_PS3_
                                        ; -- End function
	.section	.AMDGPU.csdata,"",@progbits
; Kernel info:
; codeLenInByte = 852
; NumSgprs: 18
; NumVgprs: 50
; ScratchSize: 0
; MemoryBound: 0
; FloatMode: 240
; IeeeMode: 1
; LDSByteSize: 240 bytes/workgroup (compile time only)
; SGPRBlocks: 2
; VGPRBlocks: 6
; NumSGPRsForWavesPerEU: 18
; NumVGPRsForWavesPerEU: 50
; Occupancy: 16
; WaveLimiterHint : 0
; COMPUTE_PGM_RSRC2:SCRATCH_EN: 0
; COMPUTE_PGM_RSRC2:USER_SGPR: 15
; COMPUTE_PGM_RSRC2:TRAP_HANDLER: 0
; COMPUTE_PGM_RSRC2:TGID_X_EN: 1
; COMPUTE_PGM_RSRC2:TGID_Y_EN: 0
; COMPUTE_PGM_RSRC2:TGID_Z_EN: 0
; COMPUTE_PGM_RSRC2:TIDIG_COMP_CNT: 0
	.section	.text._ZN9rocsparseL49gtsv_nopivot_strided_batch_pcr_pow2_shared_kernelILj4E21rocsparse_complex_numIdEEEviiiPKT0_S5_S5_PS3_,"axG",@progbits,_ZN9rocsparseL49gtsv_nopivot_strided_batch_pcr_pow2_shared_kernelILj4E21rocsparse_complex_numIdEEEviiiPKT0_S5_S5_PS3_,comdat
	.globl	_ZN9rocsparseL49gtsv_nopivot_strided_batch_pcr_pow2_shared_kernelILj4E21rocsparse_complex_numIdEEEviiiPKT0_S5_S5_PS3_ ; -- Begin function _ZN9rocsparseL49gtsv_nopivot_strided_batch_pcr_pow2_shared_kernelILj4E21rocsparse_complex_numIdEEEviiiPKT0_S5_S5_PS3_
	.p2align	8
	.type	_ZN9rocsparseL49gtsv_nopivot_strided_batch_pcr_pow2_shared_kernelILj4E21rocsparse_complex_numIdEEEviiiPKT0_S5_S5_PS3_,@function
_ZN9rocsparseL49gtsv_nopivot_strided_batch_pcr_pow2_shared_kernelILj4E21rocsparse_complex_numIdEEEviiiPKT0_S5_S5_PS3_: ; @_ZN9rocsparseL49gtsv_nopivot_strided_batch_pcr_pow2_shared_kernelILj4E21rocsparse_complex_numIdEEEviiiPKT0_S5_S5_PS3_
; %bb.0:
	s_clause 0x1
	s_load_b32 s8, s[0:1], 0x8
	s_load_b256 s[0:7], s[0:1], 0x10
	v_max_u32_e32 v20, 1, v0
	s_delay_alu instid0(VALU_DEP_1) | instskip(SKIP_2) | instid1(VALU_DEP_1)
	v_lshlrev_b32_e32 v52, 4, v20
	s_waitcnt lgkmcnt(0)
	v_mad_u64_u32 v[1:2], null, s15, s8, v[0:1]
	v_ashrrev_i32_e32 v2, 31, v1
	s_delay_alu instid0(VALU_DEP_1) | instskip(NEXT) | instid1(VALU_DEP_1)
	v_lshlrev_b64 v[1:2], 4, v[1:2]
	v_add_co_u32 v3, vcc_lo, s0, v1
	s_delay_alu instid0(VALU_DEP_2)
	v_add_co_ci_u32_e32 v4, vcc_lo, s1, v2, vcc_lo
	v_add_co_u32 v8, vcc_lo, s2, v1
	v_add_co_ci_u32_e32 v9, vcc_lo, s3, v2, vcc_lo
	v_add_co_u32 v12, vcc_lo, s4, v1
	;; [unrolled: 2-line block ×3, first 2 shown]
	v_add_co_ci_u32_e32 v2, vcc_lo, s7, v2, vcc_lo
	global_load_b128 v[4:7], v[3:4], off
	global_load_b128 v[8:11], v[8:9], off
	;; [unrolled: 1-line block ×4, first 2 shown]
	v_lshlrev_b32_e32 v3, 4, v0
	s_waitcnt vmcnt(3)
	ds_store_2addr_b64 v3, v[4:5], v[6:7] offset1:1
	s_waitcnt vmcnt(2)
	ds_store_2addr_b64 v3, v[8:9], v[10:11] offset0:10 offset1:11
	s_waitcnt vmcnt(1)
	ds_store_2addr_b64 v3, v[12:13], v[14:15] offset0:20 offset1:21
	;; [unrolled: 2-line block ×3, first 2 shown]
	s_waitcnt vmcnt(0) lgkmcnt(0)
	s_waitcnt_vscnt null, 0x0
	; wave barrier
	s_waitcnt lgkmcnt(0)
	buffer_gl0_inv
	ds_load_b128 v[4:7], v52 offset:64
	ds_load_b128 v[8:11], v52 offset:144
	v_min_u32_e32 v12, 2, v0
	s_delay_alu instid0(VALU_DEP_1)
	v_lshlrev_b32_e32 v54, 4, v12
	ds_load_b128 v[12:15], v54 offset:96
	ds_load_b128 v[16:19], v54 offset:16
	s_waitcnt lgkmcnt(3)
	v_mul_f64 v[20:21], v[6:7], v[6:7]
	s_waitcnt lgkmcnt(1)
	v_mul_f64 v[22:23], v[14:15], v[14:15]
	s_delay_alu instid0(VALU_DEP_2) | instskip(NEXT) | instid1(VALU_DEP_2)
	v_fma_f64 v[36:37], v[4:5], v[4:5], v[20:21]
	v_fma_f64 v[38:39], v[12:13], v[12:13], v[22:23]
	s_delay_alu instid0(VALU_DEP_2) | instskip(SKIP_1) | instid1(VALU_DEP_3)
	v_div_scale_f64 v[20:21], null, v[36:37], v[36:37], 1.0
	v_div_scale_f64 v[32:33], vcc_lo, 1.0, v[36:37], 1.0
	v_div_scale_f64 v[28:29], null, v[38:39], v[38:39], 1.0
	v_div_scale_f64 v[40:41], s0, 1.0, v[38:39], 1.0
	s_delay_alu instid0(VALU_DEP_4) | instskip(NEXT) | instid1(VALU_DEP_2)
	v_rcp_f64_e32 v[22:23], v[20:21]
	v_rcp_f64_e32 v[24:25], v[28:29]
	s_waitcnt_depctr 0xfff
	v_fma_f64 v[26:27], -v[20:21], v[22:23], 1.0
	v_fma_f64 v[30:31], -v[28:29], v[24:25], 1.0
	s_delay_alu instid0(VALU_DEP_2) | instskip(NEXT) | instid1(VALU_DEP_2)
	v_fma_f64 v[22:23], v[22:23], v[26:27], v[22:23]
	v_fma_f64 v[24:25], v[24:25], v[30:31], v[24:25]
	s_delay_alu instid0(VALU_DEP_2) | instskip(NEXT) | instid1(VALU_DEP_2)
	v_fma_f64 v[26:27], -v[20:21], v[22:23], 1.0
	v_fma_f64 v[30:31], -v[28:29], v[24:25], 1.0
	s_delay_alu instid0(VALU_DEP_2) | instskip(NEXT) | instid1(VALU_DEP_2)
	v_fma_f64 v[34:35], v[22:23], v[26:27], v[22:23]
	v_fma_f64 v[42:43], v[24:25], v[30:31], v[24:25]
	s_delay_alu instid0(VALU_DEP_2) | instskip(NEXT) | instid1(VALU_DEP_2)
	v_mul_f64 v[30:31], v[32:33], v[34:35]
	v_mul_f64 v[44:45], v[40:41], v[42:43]
	s_delay_alu instid0(VALU_DEP_2)
	v_fma_f64 v[32:33], -v[20:21], v[30:31], v[32:33]
	ds_load_b128 v[20:23], v3
	ds_load_b128 v[24:27], v3 offset:80
	v_fma_f64 v[40:41], -v[28:29], v[44:45], v[40:41]
	s_waitcnt lgkmcnt(1)
	v_mul_f64 v[46:47], v[6:7], -v[20:21]
	v_mul_f64 v[6:7], v[6:7], v[22:23]
	v_div_fmas_f64 v[48:49], v[32:33], v[34:35], v[30:31]
	ds_load_b128 v[28:31], v3 offset:160
	ds_load_b128 v[32:35], v3 offset:320
	s_mov_b32 vcc_lo, s0
	s_mov_b32 s0, exec_lo
	v_div_fmas_f64 v[40:41], v[40:41], v[42:43], v[44:45]
	s_waitcnt lgkmcnt(1)
	v_mul_f64 v[50:51], v[14:15], -v[28:29]
	v_fma_f64 v[22:23], v[22:23], v[4:5], v[46:47]
	v_mul_f64 v[14:15], v[14:15], v[30:31]
	v_fma_f64 v[20:21], v[20:21], v[4:5], v[6:7]
	ds_load_b128 v[4:7], v52 offset:304
	v_div_fixup_f64 v[36:37], v[48:49], v[36:37], 1.0
	v_div_fixup_f64 v[38:39], v[40:41], v[38:39], 1.0
	v_fma_f64 v[30:31], v[30:31], v[12:13], v[50:51]
	v_fma_f64 v[42:43], v[28:29], v[12:13], v[14:15]
	s_delay_alu instid0(VALU_DEP_4)
	v_mul_f64 v[40:41], v[36:37], v[22:23]
	v_add_nc_u32_e32 v22, -16, v52
	v_mul_f64 v[36:37], v[36:37], v[20:21]
	ds_load_b128 v[12:15], v22
	v_mul_f64 v[44:45], v[38:39], v[30:31]
	ds_load_b128 v[20:23], v54 offset:336
	ds_load_b128 v[28:31], v54 offset:176
	v_mul_f64 v[38:39], v[38:39], v[42:43]
	s_waitcnt vmcnt(0) lgkmcnt(0)
	s_waitcnt_vscnt null, 0x0
	; wave barrier
	s_waitcnt lgkmcnt(0)
	buffer_gl0_inv
	v_mul_f64 v[46:47], v[40:41], -v[10:11]
	v_mul_f64 v[48:49], v[40:41], v[8:9]
	v_mul_f64 v[50:51], v[40:41], -v[6:7]
	v_mul_f64 v[52:53], v[40:41], v[4:5]
	;; [unrolled: 2-line block ×4, first 2 shown]
	v_fma_f64 v[8:9], v[8:9], v[36:37], v[46:47]
	v_fma_f64 v[10:11], v[10:11], v[36:37], v[48:49]
	;; [unrolled: 1-line block ×4, first 2 shown]
	v_mul_f64 v[46:47], v[40:41], v[14:15]
	v_mul_f64 v[40:41], v[40:41], -v[12:13]
	v_mul_f64 v[48:49], v[44:45], v[30:31]
	v_fma_f64 v[16:17], v[16:17], v[38:39], v[42:43]
	v_fma_f64 v[18:19], v[18:19], v[38:39], v[54:55]
	;; [unrolled: 1-line block ×4, first 2 shown]
	v_add_f64 v[24:25], v[24:25], -v[8:9]
	v_add_f64 v[10:11], v[26:27], -v[10:11]
	;; [unrolled: 1-line block ×4, first 2 shown]
	v_mul_f64 v[34:35], v[44:45], -v[28:29]
	v_fma_f64 v[4:5], -v[12:13], v[36:37], v[46:47]
	v_fma_f64 v[6:7], -v[14:15], v[36:37], v[40:41]
	;; [unrolled: 1-line block ×3, first 2 shown]
	v_add_f64 v[12:13], v[24:25], -v[16:17]
	v_add_f64 v[14:15], v[10:11], -v[18:19]
	;; [unrolled: 1-line block ×4, first 2 shown]
	v_fma_f64 v[10:11], -v[30:31], v[38:39], v[34:35]
	ds_store_b128 v3, v[12:15] offset:80
	ds_store_b128 v3, v[4:7]
	ds_store_b128 v3, v[16:19] offset:320
	ds_store_b128 v3, v[8:11] offset:160
	s_waitcnt vmcnt(0) lgkmcnt(0)
	s_waitcnt_vscnt null, 0x0
	; wave barrier
	s_waitcnt lgkmcnt(0)
	buffer_gl0_inv
	v_cmpx_gt_u32_e32 2, v0
	s_cbranch_execz .LBB64_2
; %bb.1:
	v_add_nc_u32_e32 v0, 0x50, v3
	v_add_nc_u32_e32 v16, 0xa0, v3
	ds_load_b128 v[4:7], v0
	ds_load_b128 v[8:11], v3 offset:32
	ds_load_b128 v[12:15], v0 offset:32
	ds_load_b128 v[16:19], v16
	v_or_b32_e32 v0, 0x140, v3
	s_waitcnt lgkmcnt(1)
	v_mul_f64 v[20:21], v[6:7], v[12:13]
	s_waitcnt lgkmcnt(0)
	v_mul_f64 v[22:23], v[10:11], v[16:17]
	v_mul_f64 v[24:25], v[6:7], -v[14:15]
	v_mul_f64 v[26:27], v[10:11], -v[18:19]
	s_delay_alu instid0(VALU_DEP_4) | instskip(NEXT) | instid1(VALU_DEP_4)
	v_fma_f64 v[20:21], v[14:15], v[4:5], v[20:21]
	v_fma_f64 v[22:23], v[18:19], v[8:9], v[22:23]
	s_delay_alu instid0(VALU_DEP_4) | instskip(NEXT) | instid1(VALU_DEP_4)
	v_fma_f64 v[24:25], v[12:13], v[4:5], v[24:25]
	v_fma_f64 v[26:27], v[16:17], v[8:9], v[26:27]
	s_delay_alu instid0(VALU_DEP_3) | instskip(NEXT) | instid1(VALU_DEP_2)
	v_add_f64 v[28:29], v[20:21], -v[22:23]
	v_add_f64 v[30:31], v[24:25], -v[26:27]
	s_delay_alu instid0(VALU_DEP_2) | instskip(NEXT) | instid1(VALU_DEP_1)
	v_mul_f64 v[20:21], v[28:29], v[28:29]
	v_fma_f64 v[32:33], v[30:31], v[30:31], v[20:21]
	s_delay_alu instid0(VALU_DEP_1) | instskip(SKIP_1) | instid1(VALU_DEP_2)
	v_div_scale_f64 v[20:21], null, v[32:33], v[32:33], 1.0
	v_div_scale_f64 v[26:27], vcc_lo, 1.0, v[32:33], 1.0
	v_rcp_f64_e32 v[22:23], v[20:21]
	s_waitcnt_depctr 0xfff
	v_fma_f64 v[24:25], -v[20:21], v[22:23], 1.0
	s_delay_alu instid0(VALU_DEP_1) | instskip(NEXT) | instid1(VALU_DEP_1)
	v_fma_f64 v[22:23], v[22:23], v[24:25], v[22:23]
	v_fma_f64 v[24:25], -v[20:21], v[22:23], 1.0
	s_delay_alu instid0(VALU_DEP_1) | instskip(NEXT) | instid1(VALU_DEP_1)
	v_fma_f64 v[34:35], v[22:23], v[24:25], v[22:23]
	v_mul_f64 v[36:37], v[26:27], v[34:35]
	s_delay_alu instid0(VALU_DEP_1)
	v_fma_f64 v[38:39], -v[20:21], v[36:37], v[26:27]
	ds_load_b128 v[20:23], v0
	ds_load_b128 v[24:27], v0 offset:32
	s_waitcnt lgkmcnt(1)
	v_mul_f64 v[40:41], v[22:23], -v[14:15]
	v_mul_f64 v[42:43], v[12:13], v[22:23]
	s_waitcnt lgkmcnt(0)
	v_mul_f64 v[44:45], v[26:27], -v[18:19]
	v_mul_f64 v[46:47], v[16:17], v[26:27]
	v_mul_f64 v[48:49], v[6:7], -v[26:27]
	v_mul_f64 v[6:7], v[6:7], v[24:25]
	v_div_fmas_f64 v[34:35], v[38:39], v[34:35], v[36:37]
	v_mul_f64 v[36:37], v[10:11], v[20:21]
	v_mul_f64 v[10:11], v[10:11], -v[22:23]
	v_fma_f64 v[38:39], v[30:31], 0, -v[28:29]
	v_fma_f64 v[12:13], v[12:13], v[20:21], v[40:41]
	v_fma_f64 v[14:15], v[14:15], v[20:21], v[42:43]
	v_fma_f64 v[16:17], v[16:17], v[24:25], v[44:45]
	v_fma_f64 v[18:19], v[18:19], v[24:25], v[46:47]
	v_fma_f64 v[24:25], v[24:25], v[4:5], v[48:49]
	v_fma_f64 v[4:5], v[26:27], v[4:5], v[6:7]
	v_div_fixup_f64 v[32:33], v[34:35], v[32:33], 1.0
	v_fma_f64 v[6:7], v[22:23], v[8:9], v[36:37]
	v_fma_f64 v[8:9], v[20:21], v[8:9], v[10:11]
	v_add_f64 v[12:13], v[12:13], -v[16:17]
	v_add_f64 v[10:11], v[14:15], -v[18:19]
	v_fma_f64 v[14:15], v[28:29], 0, v[30:31]
	v_mul_f64 v[18:19], v[38:39], v[32:33]
	v_add_f64 v[16:17], v[4:5], -v[6:7]
	v_add_f64 v[8:9], v[24:25], -v[8:9]
	s_delay_alu instid0(VALU_DEP_4) | instskip(NEXT) | instid1(VALU_DEP_4)
	v_mul_f64 v[14:15], v[14:15], v[32:33]
	v_mul_f64 v[4:5], v[18:19], -v[10:11]
	v_mul_f64 v[6:7], v[18:19], v[12:13]
	v_mul_f64 v[20:21], v[18:19], -v[16:17]
	v_mul_f64 v[18:19], v[18:19], v[8:9]
	s_delay_alu instid0(VALU_DEP_4) | instskip(NEXT) | instid1(VALU_DEP_4)
	v_fma_f64 v[4:5], v[12:13], v[14:15], v[4:5]
	v_fma_f64 v[6:7], v[10:11], v[14:15], v[6:7]
	s_delay_alu instid0(VALU_DEP_4) | instskip(NEXT) | instid1(VALU_DEP_4)
	v_fma_f64 v[8:9], v[8:9], v[14:15], v[20:21]
	v_fma_f64 v[10:11], v[16:17], v[14:15], v[18:19]
	ds_store_b128 v3, v[4:7] offset:240
	ds_store_b128 v3, v[8:11] offset:272
.LBB64_2:
	s_or_b32 exec_lo, exec_lo, s0
	s_waitcnt vmcnt(0) lgkmcnt(0)
	s_waitcnt_vscnt null, 0x0
	; wave barrier
	s_waitcnt lgkmcnt(0)
	buffer_gl0_inv
	ds_load_2addr_b64 v[3:6], v3 offset0:30 offset1:31
	s_waitcnt lgkmcnt(0)
	global_store_b128 v[1:2], v[3:6], off
	s_nop 0
	s_sendmsg sendmsg(MSG_DEALLOC_VGPRS)
	s_endpgm
	.section	.rodata,"a",@progbits
	.p2align	6, 0x0
	.amdhsa_kernel _ZN9rocsparseL49gtsv_nopivot_strided_batch_pcr_pow2_shared_kernelILj4E21rocsparse_complex_numIdEEEviiiPKT0_S5_S5_PS3_
		.amdhsa_group_segment_fixed_size 400
		.amdhsa_private_segment_fixed_size 0
		.amdhsa_kernarg_size 48
		.amdhsa_user_sgpr_count 15
		.amdhsa_user_sgpr_dispatch_ptr 0
		.amdhsa_user_sgpr_queue_ptr 0
		.amdhsa_user_sgpr_kernarg_segment_ptr 1
		.amdhsa_user_sgpr_dispatch_id 0
		.amdhsa_user_sgpr_private_segment_size 0
		.amdhsa_wavefront_size32 1
		.amdhsa_uses_dynamic_stack 0
		.amdhsa_enable_private_segment 0
		.amdhsa_system_sgpr_workgroup_id_x 1
		.amdhsa_system_sgpr_workgroup_id_y 0
		.amdhsa_system_sgpr_workgroup_id_z 0
		.amdhsa_system_sgpr_workgroup_info 0
		.amdhsa_system_vgpr_workitem_id 0
		.amdhsa_next_free_vgpr 60
		.amdhsa_next_free_sgpr 16
		.amdhsa_reserve_vcc 1
		.amdhsa_float_round_mode_32 0
		.amdhsa_float_round_mode_16_64 0
		.amdhsa_float_denorm_mode_32 3
		.amdhsa_float_denorm_mode_16_64 3
		.amdhsa_dx10_clamp 1
		.amdhsa_ieee_mode 1
		.amdhsa_fp16_overflow 0
		.amdhsa_workgroup_processor_mode 1
		.amdhsa_memory_ordered 1
		.amdhsa_forward_progress 0
		.amdhsa_shared_vgpr_count 0
		.amdhsa_exception_fp_ieee_invalid_op 0
		.amdhsa_exception_fp_denorm_src 0
		.amdhsa_exception_fp_ieee_div_zero 0
		.amdhsa_exception_fp_ieee_overflow 0
		.amdhsa_exception_fp_ieee_underflow 0
		.amdhsa_exception_fp_ieee_inexact 0
		.amdhsa_exception_int_div_zero 0
	.end_amdhsa_kernel
	.section	.text._ZN9rocsparseL49gtsv_nopivot_strided_batch_pcr_pow2_shared_kernelILj4E21rocsparse_complex_numIdEEEviiiPKT0_S5_S5_PS3_,"axG",@progbits,_ZN9rocsparseL49gtsv_nopivot_strided_batch_pcr_pow2_shared_kernelILj4E21rocsparse_complex_numIdEEEviiiPKT0_S5_S5_PS3_,comdat
.Lfunc_end64:
	.size	_ZN9rocsparseL49gtsv_nopivot_strided_batch_pcr_pow2_shared_kernelILj4E21rocsparse_complex_numIdEEEviiiPKT0_S5_S5_PS3_, .Lfunc_end64-_ZN9rocsparseL49gtsv_nopivot_strided_batch_pcr_pow2_shared_kernelILj4E21rocsparse_complex_numIdEEEviiiPKT0_S5_S5_PS3_
                                        ; -- End function
	.section	.AMDGPU.csdata,"",@progbits
; Kernel info:
; codeLenInByte = 1668
; NumSgprs: 18
; NumVgprs: 60
; ScratchSize: 0
; MemoryBound: 0
; FloatMode: 240
; IeeeMode: 1
; LDSByteSize: 400 bytes/workgroup (compile time only)
; SGPRBlocks: 2
; VGPRBlocks: 7
; NumSGPRsForWavesPerEU: 18
; NumVGPRsForWavesPerEU: 60
; Occupancy: 16
; WaveLimiterHint : 0
; COMPUTE_PGM_RSRC2:SCRATCH_EN: 0
; COMPUTE_PGM_RSRC2:USER_SGPR: 15
; COMPUTE_PGM_RSRC2:TRAP_HANDLER: 0
; COMPUTE_PGM_RSRC2:TGID_X_EN: 1
; COMPUTE_PGM_RSRC2:TGID_Y_EN: 0
; COMPUTE_PGM_RSRC2:TGID_Z_EN: 0
; COMPUTE_PGM_RSRC2:TIDIG_COMP_CNT: 0
	.section	.text._ZN9rocsparseL49gtsv_nopivot_strided_batch_pcr_pow2_shared_kernelILj8E21rocsparse_complex_numIdEEEviiiPKT0_S5_S5_PS3_,"axG",@progbits,_ZN9rocsparseL49gtsv_nopivot_strided_batch_pcr_pow2_shared_kernelILj8E21rocsparse_complex_numIdEEEviiiPKT0_S5_S5_PS3_,comdat
	.globl	_ZN9rocsparseL49gtsv_nopivot_strided_batch_pcr_pow2_shared_kernelILj8E21rocsparse_complex_numIdEEEviiiPKT0_S5_S5_PS3_ ; -- Begin function _ZN9rocsparseL49gtsv_nopivot_strided_batch_pcr_pow2_shared_kernelILj8E21rocsparse_complex_numIdEEEviiiPKT0_S5_S5_PS3_
	.p2align	8
	.type	_ZN9rocsparseL49gtsv_nopivot_strided_batch_pcr_pow2_shared_kernelILj8E21rocsparse_complex_numIdEEEviiiPKT0_S5_S5_PS3_,@function
_ZN9rocsparseL49gtsv_nopivot_strided_batch_pcr_pow2_shared_kernelILj8E21rocsparse_complex_numIdEEEviiiPKT0_S5_S5_PS3_: ; @_ZN9rocsparseL49gtsv_nopivot_strided_batch_pcr_pow2_shared_kernelILj8E21rocsparse_complex_numIdEEEviiiPKT0_S5_S5_PS3_
; %bb.0:
	s_clause 0x1
	s_load_b32 s8, s[0:1], 0x8
	s_load_b256 s[0:7], s[0:1], 0x10
	v_max_u32_e32 v20, 1, v0
	s_delay_alu instid0(VALU_DEP_1) | instskip(SKIP_2) | instid1(VALU_DEP_1)
	v_lshlrev_b32_e32 v52, 4, v20
	s_waitcnt lgkmcnt(0)
	v_mad_u64_u32 v[1:2], null, s15, s8, v[0:1]
	v_ashrrev_i32_e32 v2, 31, v1
	s_delay_alu instid0(VALU_DEP_1) | instskip(NEXT) | instid1(VALU_DEP_1)
	v_lshlrev_b64 v[1:2], 4, v[1:2]
	v_add_co_u32 v3, vcc_lo, s0, v1
	s_delay_alu instid0(VALU_DEP_2)
	v_add_co_ci_u32_e32 v4, vcc_lo, s1, v2, vcc_lo
	v_add_co_u32 v8, vcc_lo, s2, v1
	v_add_co_ci_u32_e32 v9, vcc_lo, s3, v2, vcc_lo
	v_add_co_u32 v12, vcc_lo, s4, v1
	;; [unrolled: 2-line block ×3, first 2 shown]
	v_add_co_ci_u32_e32 v2, vcc_lo, s7, v2, vcc_lo
	global_load_b128 v[4:7], v[3:4], off
	global_load_b128 v[8:11], v[8:9], off
	;; [unrolled: 1-line block ×4, first 2 shown]
	v_lshlrev_b32_e32 v3, 4, v0
	s_waitcnt vmcnt(3)
	ds_store_2addr_b64 v3, v[4:5], v[6:7] offset1:1
	s_waitcnt vmcnt(2)
	ds_store_2addr_b64 v3, v[8:9], v[10:11] offset0:18 offset1:19
	s_waitcnt vmcnt(1)
	ds_store_2addr_b64 v3, v[12:13], v[14:15] offset0:36 offset1:37
	;; [unrolled: 2-line block ×3, first 2 shown]
	s_waitcnt vmcnt(0) lgkmcnt(0)
	s_waitcnt_vscnt null, 0x0
	; wave barrier
	s_waitcnt lgkmcnt(0)
	buffer_gl0_inv
	ds_load_b128 v[4:7], v52 offset:128
	ds_load_b128 v[8:11], v52 offset:272
	v_min_u32_e32 v12, 6, v0
	s_delay_alu instid0(VALU_DEP_1)
	v_lshlrev_b32_e32 v54, 4, v12
	ds_load_b128 v[12:15], v54 offset:160
	ds_load_b128 v[16:19], v54 offset:16
	s_waitcnt lgkmcnt(3)
	v_mul_f64 v[20:21], v[6:7], v[6:7]
	s_waitcnt lgkmcnt(1)
	v_mul_f64 v[22:23], v[14:15], v[14:15]
	s_delay_alu instid0(VALU_DEP_2) | instskip(NEXT) | instid1(VALU_DEP_2)
	v_fma_f64 v[36:37], v[4:5], v[4:5], v[20:21]
	v_fma_f64 v[38:39], v[12:13], v[12:13], v[22:23]
	s_delay_alu instid0(VALU_DEP_2) | instskip(SKIP_1) | instid1(VALU_DEP_3)
	v_div_scale_f64 v[20:21], null, v[36:37], v[36:37], 1.0
	v_div_scale_f64 v[32:33], vcc_lo, 1.0, v[36:37], 1.0
	v_div_scale_f64 v[28:29], null, v[38:39], v[38:39], 1.0
	v_div_scale_f64 v[40:41], s0, 1.0, v[38:39], 1.0
	s_delay_alu instid0(VALU_DEP_4) | instskip(NEXT) | instid1(VALU_DEP_2)
	v_rcp_f64_e32 v[22:23], v[20:21]
	v_rcp_f64_e32 v[24:25], v[28:29]
	s_waitcnt_depctr 0xfff
	v_fma_f64 v[26:27], -v[20:21], v[22:23], 1.0
	v_fma_f64 v[30:31], -v[28:29], v[24:25], 1.0
	s_delay_alu instid0(VALU_DEP_2) | instskip(NEXT) | instid1(VALU_DEP_2)
	v_fma_f64 v[22:23], v[22:23], v[26:27], v[22:23]
	v_fma_f64 v[24:25], v[24:25], v[30:31], v[24:25]
	s_delay_alu instid0(VALU_DEP_2) | instskip(NEXT) | instid1(VALU_DEP_2)
	v_fma_f64 v[26:27], -v[20:21], v[22:23], 1.0
	v_fma_f64 v[30:31], -v[28:29], v[24:25], 1.0
	s_delay_alu instid0(VALU_DEP_2) | instskip(NEXT) | instid1(VALU_DEP_2)
	v_fma_f64 v[34:35], v[22:23], v[26:27], v[22:23]
	v_fma_f64 v[42:43], v[24:25], v[30:31], v[24:25]
	s_delay_alu instid0(VALU_DEP_2) | instskip(NEXT) | instid1(VALU_DEP_2)
	v_mul_f64 v[30:31], v[32:33], v[34:35]
	v_mul_f64 v[44:45], v[40:41], v[42:43]
	s_delay_alu instid0(VALU_DEP_2)
	v_fma_f64 v[32:33], -v[20:21], v[30:31], v[32:33]
	ds_load_b128 v[20:23], v3
	ds_load_b128 v[24:27], v3 offset:144
	v_fma_f64 v[40:41], -v[28:29], v[44:45], v[40:41]
	s_waitcnt lgkmcnt(1)
	v_mul_f64 v[46:47], v[6:7], -v[20:21]
	v_mul_f64 v[6:7], v[6:7], v[22:23]
	v_div_fmas_f64 v[48:49], v[32:33], v[34:35], v[30:31]
	ds_load_b128 v[28:31], v3 offset:288
	ds_load_b128 v[32:35], v3 offset:576
	s_mov_b32 vcc_lo, s0
	v_div_fmas_f64 v[40:41], v[40:41], v[42:43], v[44:45]
	s_waitcnt lgkmcnt(1)
	v_mul_f64 v[50:51], v[14:15], -v[28:29]
	v_fma_f64 v[22:23], v[22:23], v[4:5], v[46:47]
	v_mul_f64 v[14:15], v[14:15], v[30:31]
	v_fma_f64 v[20:21], v[20:21], v[4:5], v[6:7]
	ds_load_b128 v[4:7], v52 offset:560
	v_div_fixup_f64 v[36:37], v[48:49], v[36:37], 1.0
	v_div_fixup_f64 v[38:39], v[40:41], v[38:39], 1.0
	v_fma_f64 v[30:31], v[30:31], v[12:13], v[50:51]
	v_fma_f64 v[42:43], v[28:29], v[12:13], v[14:15]
	s_delay_alu instid0(VALU_DEP_4)
	v_mul_f64 v[40:41], v[36:37], v[22:23]
	v_add_nc_u32_e32 v22, -16, v52
	v_mul_f64 v[36:37], v[36:37], v[20:21]
	ds_load_b128 v[12:15], v22
	v_mul_f64 v[44:45], v[38:39], v[30:31]
	ds_load_b128 v[20:23], v54 offset:592
	ds_load_b128 v[28:31], v54 offset:304
	v_mul_f64 v[38:39], v[38:39], v[42:43]
	s_waitcnt vmcnt(0) lgkmcnt(0)
	s_waitcnt_vscnt null, 0x0
	; wave barrier
	s_waitcnt lgkmcnt(0)
	buffer_gl0_inv
	v_mul_f64 v[46:47], v[40:41], -v[10:11]
	v_mul_f64 v[48:49], v[40:41], v[8:9]
	v_mul_f64 v[50:51], v[40:41], -v[6:7]
	v_mul_f64 v[52:53], v[40:41], v[4:5]
	;; [unrolled: 2-line block ×4, first 2 shown]
	v_fma_f64 v[8:9], v[8:9], v[36:37], v[46:47]
	v_fma_f64 v[10:11], v[10:11], v[36:37], v[48:49]
	;; [unrolled: 1-line block ×4, first 2 shown]
	v_mul_f64 v[46:47], v[40:41], v[14:15]
	v_mul_f64 v[40:41], v[40:41], -v[12:13]
	v_mul_f64 v[48:49], v[44:45], v[30:31]
	v_fma_f64 v[16:17], v[16:17], v[38:39], v[42:43]
	v_fma_f64 v[18:19], v[18:19], v[38:39], v[54:55]
	v_fma_f64 v[20:21], v[20:21], v[38:39], v[56:57]
	v_fma_f64 v[22:23], v[22:23], v[38:39], v[58:59]
	v_add_f64 v[24:25], v[24:25], -v[8:9]
	v_add_f64 v[10:11], v[26:27], -v[10:11]
	;; [unrolled: 1-line block ×4, first 2 shown]
	v_mul_f64 v[34:35], v[44:45], -v[28:29]
	v_fma_f64 v[4:5], -v[12:13], v[36:37], v[46:47]
	v_fma_f64 v[6:7], -v[14:15], v[36:37], v[40:41]
	;; [unrolled: 1-line block ×3, first 2 shown]
	v_add_f64 v[12:13], v[24:25], -v[16:17]
	v_add_f64 v[14:15], v[10:11], -v[18:19]
	;; [unrolled: 1-line block ×4, first 2 shown]
	v_fma_f64 v[10:11], -v[30:31], v[38:39], v[34:35]
	v_max_u32_e32 v20, 2, v0
	ds_store_b128 v3, v[12:15] offset:144
	ds_store_b128 v3, v[4:7]
	ds_store_b128 v3, v[16:19] offset:576
	ds_store_b128 v3, v[8:11] offset:288
	v_lshlrev_b32_e32 v52, 4, v20
	s_waitcnt vmcnt(0) lgkmcnt(0)
	s_waitcnt_vscnt null, 0x0
	; wave barrier
	s_waitcnt lgkmcnt(0)
	buffer_gl0_inv
	ds_load_b128 v[4:7], v52 offset:112
	ds_load_b128 v[8:11], v52 offset:256
	v_min_u32_e32 v12, 5, v0
	s_delay_alu instid0(VALU_DEP_1)
	v_lshlrev_b32_e32 v54, 4, v12
	ds_load_b128 v[12:15], v54 offset:176
	ds_load_b128 v[16:19], v54 offset:32
	s_waitcnt lgkmcnt(3)
	v_mul_f64 v[20:21], v[6:7], v[6:7]
	s_waitcnt lgkmcnt(1)
	v_mul_f64 v[22:23], v[14:15], v[14:15]
	s_delay_alu instid0(VALU_DEP_2) | instskip(NEXT) | instid1(VALU_DEP_2)
	v_fma_f64 v[36:37], v[4:5], v[4:5], v[20:21]
	v_fma_f64 v[38:39], v[12:13], v[12:13], v[22:23]
	s_delay_alu instid0(VALU_DEP_2) | instskip(SKIP_1) | instid1(VALU_DEP_3)
	v_div_scale_f64 v[20:21], null, v[36:37], v[36:37], 1.0
	v_div_scale_f64 v[32:33], vcc_lo, 1.0, v[36:37], 1.0
	v_div_scale_f64 v[28:29], null, v[38:39], v[38:39], 1.0
	v_div_scale_f64 v[40:41], s0, 1.0, v[38:39], 1.0
	s_delay_alu instid0(VALU_DEP_4) | instskip(NEXT) | instid1(VALU_DEP_2)
	v_rcp_f64_e32 v[22:23], v[20:21]
	v_rcp_f64_e32 v[24:25], v[28:29]
	s_waitcnt_depctr 0xfff
	v_fma_f64 v[26:27], -v[20:21], v[22:23], 1.0
	v_fma_f64 v[30:31], -v[28:29], v[24:25], 1.0
	s_delay_alu instid0(VALU_DEP_2) | instskip(NEXT) | instid1(VALU_DEP_2)
	v_fma_f64 v[22:23], v[22:23], v[26:27], v[22:23]
	v_fma_f64 v[24:25], v[24:25], v[30:31], v[24:25]
	s_delay_alu instid0(VALU_DEP_2) | instskip(NEXT) | instid1(VALU_DEP_2)
	v_fma_f64 v[26:27], -v[20:21], v[22:23], 1.0
	v_fma_f64 v[30:31], -v[28:29], v[24:25], 1.0
	s_delay_alu instid0(VALU_DEP_2) | instskip(NEXT) | instid1(VALU_DEP_2)
	v_fma_f64 v[34:35], v[22:23], v[26:27], v[22:23]
	v_fma_f64 v[42:43], v[24:25], v[30:31], v[24:25]
	s_delay_alu instid0(VALU_DEP_2) | instskip(NEXT) | instid1(VALU_DEP_2)
	v_mul_f64 v[30:31], v[32:33], v[34:35]
	v_mul_f64 v[44:45], v[40:41], v[42:43]
	s_delay_alu instid0(VALU_DEP_2)
	v_fma_f64 v[32:33], -v[20:21], v[30:31], v[32:33]
	ds_load_b128 v[20:23], v3
	ds_load_b128 v[24:27], v3 offset:144
	v_fma_f64 v[40:41], -v[28:29], v[44:45], v[40:41]
	s_waitcnt lgkmcnt(1)
	v_mul_f64 v[46:47], v[6:7], -v[20:21]
	v_mul_f64 v[6:7], v[6:7], v[22:23]
	v_div_fmas_f64 v[48:49], v[32:33], v[34:35], v[30:31]
	ds_load_b128 v[28:31], v3 offset:288
	ds_load_b128 v[32:35], v3 offset:576
	s_mov_b32 vcc_lo, s0
	s_mov_b32 s0, exec_lo
	v_div_fmas_f64 v[40:41], v[40:41], v[42:43], v[44:45]
	s_waitcnt lgkmcnt(1)
	v_mul_f64 v[50:51], v[14:15], -v[28:29]
	v_fma_f64 v[22:23], v[22:23], v[4:5], v[46:47]
	v_mul_f64 v[14:15], v[14:15], v[30:31]
	v_fma_f64 v[20:21], v[20:21], v[4:5], v[6:7]
	ds_load_b128 v[4:7], v52 offset:544
	v_div_fixup_f64 v[36:37], v[48:49], v[36:37], 1.0
	v_div_fixup_f64 v[38:39], v[40:41], v[38:39], 1.0
	v_fma_f64 v[30:31], v[30:31], v[12:13], v[50:51]
	v_fma_f64 v[42:43], v[28:29], v[12:13], v[14:15]
	s_delay_alu instid0(VALU_DEP_4)
	v_mul_f64 v[40:41], v[36:37], v[22:23]
	v_subrev_nc_u32_e32 v22, 32, v52
	v_mul_f64 v[36:37], v[36:37], v[20:21]
	ds_load_b128 v[12:15], v22
	v_mul_f64 v[44:45], v[38:39], v[30:31]
	ds_load_b128 v[20:23], v54 offset:608
	ds_load_b128 v[28:31], v54 offset:320
	v_mul_f64 v[38:39], v[38:39], v[42:43]
	s_waitcnt vmcnt(0) lgkmcnt(0)
	s_waitcnt_vscnt null, 0x0
	; wave barrier
	s_waitcnt lgkmcnt(0)
	buffer_gl0_inv
	v_mul_f64 v[46:47], v[40:41], -v[10:11]
	v_mul_f64 v[48:49], v[40:41], v[8:9]
	v_mul_f64 v[50:51], v[40:41], -v[6:7]
	v_mul_f64 v[52:53], v[40:41], v[4:5]
	;; [unrolled: 2-line block ×4, first 2 shown]
	v_fma_f64 v[8:9], v[8:9], v[36:37], v[46:47]
	v_fma_f64 v[10:11], v[10:11], v[36:37], v[48:49]
	;; [unrolled: 1-line block ×4, first 2 shown]
	v_mul_f64 v[46:47], v[40:41], v[14:15]
	v_mul_f64 v[40:41], v[40:41], -v[12:13]
	v_mul_f64 v[48:49], v[44:45], v[30:31]
	v_fma_f64 v[16:17], v[16:17], v[38:39], v[42:43]
	v_fma_f64 v[18:19], v[18:19], v[38:39], v[54:55]
	;; [unrolled: 1-line block ×4, first 2 shown]
	v_add_f64 v[24:25], v[24:25], -v[8:9]
	v_add_f64 v[10:11], v[26:27], -v[10:11]
	;; [unrolled: 1-line block ×4, first 2 shown]
	v_mul_f64 v[34:35], v[44:45], -v[28:29]
	v_fma_f64 v[4:5], -v[12:13], v[36:37], v[46:47]
	v_fma_f64 v[6:7], -v[14:15], v[36:37], v[40:41]
	v_fma_f64 v[8:9], -v[28:29], v[38:39], v[48:49]
	v_add_f64 v[12:13], v[24:25], -v[16:17]
	v_add_f64 v[14:15], v[10:11], -v[18:19]
	;; [unrolled: 1-line block ×4, first 2 shown]
	v_fma_f64 v[10:11], -v[30:31], v[38:39], v[34:35]
	ds_store_b128 v3, v[12:15] offset:144
	ds_store_b128 v3, v[4:7]
	ds_store_b128 v3, v[16:19] offset:576
	ds_store_b128 v3, v[8:11] offset:288
	s_waitcnt vmcnt(0) lgkmcnt(0)
	s_waitcnt_vscnt null, 0x0
	; wave barrier
	s_waitcnt lgkmcnt(0)
	buffer_gl0_inv
	v_cmpx_gt_u32_e32 4, v0
	s_cbranch_execz .LBB65_2
; %bb.1:
	v_add_nc_u32_e32 v0, 0x90, v3
	v_add_nc_u32_e32 v16, 0x120, v3
	ds_load_b128 v[4:7], v0
	ds_load_b128 v[8:11], v3 offset:64
	ds_load_b128 v[12:15], v0 offset:64
	ds_load_b128 v[16:19], v16
	v_add_nc_u32_e32 v0, 0x240, v3
	s_waitcnt lgkmcnt(1)
	v_mul_f64 v[20:21], v[6:7], v[12:13]
	s_waitcnt lgkmcnt(0)
	v_mul_f64 v[22:23], v[10:11], v[16:17]
	v_mul_f64 v[24:25], v[6:7], -v[14:15]
	v_mul_f64 v[26:27], v[10:11], -v[18:19]
	s_delay_alu instid0(VALU_DEP_4) | instskip(NEXT) | instid1(VALU_DEP_4)
	v_fma_f64 v[20:21], v[14:15], v[4:5], v[20:21]
	v_fma_f64 v[22:23], v[18:19], v[8:9], v[22:23]
	s_delay_alu instid0(VALU_DEP_4) | instskip(NEXT) | instid1(VALU_DEP_4)
	v_fma_f64 v[24:25], v[12:13], v[4:5], v[24:25]
	v_fma_f64 v[26:27], v[16:17], v[8:9], v[26:27]
	s_delay_alu instid0(VALU_DEP_3) | instskip(NEXT) | instid1(VALU_DEP_2)
	v_add_f64 v[28:29], v[20:21], -v[22:23]
	v_add_f64 v[30:31], v[24:25], -v[26:27]
	s_delay_alu instid0(VALU_DEP_2) | instskip(NEXT) | instid1(VALU_DEP_1)
	v_mul_f64 v[20:21], v[28:29], v[28:29]
	v_fma_f64 v[32:33], v[30:31], v[30:31], v[20:21]
	s_delay_alu instid0(VALU_DEP_1) | instskip(SKIP_1) | instid1(VALU_DEP_2)
	v_div_scale_f64 v[20:21], null, v[32:33], v[32:33], 1.0
	v_div_scale_f64 v[26:27], vcc_lo, 1.0, v[32:33], 1.0
	v_rcp_f64_e32 v[22:23], v[20:21]
	s_waitcnt_depctr 0xfff
	v_fma_f64 v[24:25], -v[20:21], v[22:23], 1.0
	s_delay_alu instid0(VALU_DEP_1) | instskip(NEXT) | instid1(VALU_DEP_1)
	v_fma_f64 v[22:23], v[22:23], v[24:25], v[22:23]
	v_fma_f64 v[24:25], -v[20:21], v[22:23], 1.0
	s_delay_alu instid0(VALU_DEP_1) | instskip(NEXT) | instid1(VALU_DEP_1)
	v_fma_f64 v[34:35], v[22:23], v[24:25], v[22:23]
	v_mul_f64 v[36:37], v[26:27], v[34:35]
	s_delay_alu instid0(VALU_DEP_1)
	v_fma_f64 v[38:39], -v[20:21], v[36:37], v[26:27]
	ds_load_b128 v[20:23], v0
	ds_load_b128 v[24:27], v0 offset:64
	s_waitcnt lgkmcnt(1)
	v_mul_f64 v[40:41], v[22:23], -v[14:15]
	v_mul_f64 v[42:43], v[12:13], v[22:23]
	s_waitcnt lgkmcnt(0)
	v_mul_f64 v[44:45], v[26:27], -v[18:19]
	v_mul_f64 v[46:47], v[16:17], v[26:27]
	v_mul_f64 v[48:49], v[6:7], -v[26:27]
	v_mul_f64 v[6:7], v[6:7], v[24:25]
	v_div_fmas_f64 v[34:35], v[38:39], v[34:35], v[36:37]
	v_mul_f64 v[36:37], v[10:11], v[20:21]
	v_mul_f64 v[10:11], v[10:11], -v[22:23]
	v_fma_f64 v[38:39], v[30:31], 0, -v[28:29]
	v_fma_f64 v[12:13], v[12:13], v[20:21], v[40:41]
	v_fma_f64 v[14:15], v[14:15], v[20:21], v[42:43]
	;; [unrolled: 1-line block ×6, first 2 shown]
	v_div_fixup_f64 v[32:33], v[34:35], v[32:33], 1.0
	v_fma_f64 v[6:7], v[22:23], v[8:9], v[36:37]
	v_fma_f64 v[8:9], v[20:21], v[8:9], v[10:11]
	v_add_f64 v[12:13], v[12:13], -v[16:17]
	v_add_f64 v[10:11], v[14:15], -v[18:19]
	v_fma_f64 v[14:15], v[28:29], 0, v[30:31]
	v_mul_f64 v[18:19], v[38:39], v[32:33]
	v_add_f64 v[16:17], v[4:5], -v[6:7]
	v_add_f64 v[8:9], v[24:25], -v[8:9]
	s_delay_alu instid0(VALU_DEP_4) | instskip(NEXT) | instid1(VALU_DEP_4)
	v_mul_f64 v[14:15], v[14:15], v[32:33]
	v_mul_f64 v[4:5], v[18:19], -v[10:11]
	v_mul_f64 v[6:7], v[18:19], v[12:13]
	v_mul_f64 v[20:21], v[18:19], -v[16:17]
	v_mul_f64 v[18:19], v[18:19], v[8:9]
	s_delay_alu instid0(VALU_DEP_4) | instskip(NEXT) | instid1(VALU_DEP_4)
	v_fma_f64 v[4:5], v[12:13], v[14:15], v[4:5]
	v_fma_f64 v[6:7], v[10:11], v[14:15], v[6:7]
	s_delay_alu instid0(VALU_DEP_4) | instskip(NEXT) | instid1(VALU_DEP_4)
	v_fma_f64 v[8:9], v[8:9], v[14:15], v[20:21]
	v_fma_f64 v[10:11], v[16:17], v[14:15], v[18:19]
	ds_store_b128 v3, v[4:7] offset:432
	ds_store_b128 v3, v[8:11] offset:496
.LBB65_2:
	s_or_b32 exec_lo, exec_lo, s0
	s_waitcnt vmcnt(0) lgkmcnt(0)
	s_waitcnt_vscnt null, 0x0
	; wave barrier
	s_waitcnt lgkmcnt(0)
	buffer_gl0_inv
	ds_load_2addr_b64 v[3:6], v3 offset0:54 offset1:55
	s_waitcnt lgkmcnt(0)
	global_store_b128 v[1:2], v[3:6], off
	s_nop 0
	s_sendmsg sendmsg(MSG_DEALLOC_VGPRS)
	s_endpgm
	.section	.rodata,"a",@progbits
	.p2align	6, 0x0
	.amdhsa_kernel _ZN9rocsparseL49gtsv_nopivot_strided_batch_pcr_pow2_shared_kernelILj8E21rocsparse_complex_numIdEEEviiiPKT0_S5_S5_PS3_
		.amdhsa_group_segment_fixed_size 720
		.amdhsa_private_segment_fixed_size 0
		.amdhsa_kernarg_size 48
		.amdhsa_user_sgpr_count 15
		.amdhsa_user_sgpr_dispatch_ptr 0
		.amdhsa_user_sgpr_queue_ptr 0
		.amdhsa_user_sgpr_kernarg_segment_ptr 1
		.amdhsa_user_sgpr_dispatch_id 0
		.amdhsa_user_sgpr_private_segment_size 0
		.amdhsa_wavefront_size32 1
		.amdhsa_uses_dynamic_stack 0
		.amdhsa_enable_private_segment 0
		.amdhsa_system_sgpr_workgroup_id_x 1
		.amdhsa_system_sgpr_workgroup_id_y 0
		.amdhsa_system_sgpr_workgroup_id_z 0
		.amdhsa_system_sgpr_workgroup_info 0
		.amdhsa_system_vgpr_workitem_id 0
		.amdhsa_next_free_vgpr 60
		.amdhsa_next_free_sgpr 16
		.amdhsa_reserve_vcc 1
		.amdhsa_float_round_mode_32 0
		.amdhsa_float_round_mode_16_64 0
		.amdhsa_float_denorm_mode_32 3
		.amdhsa_float_denorm_mode_16_64 3
		.amdhsa_dx10_clamp 1
		.amdhsa_ieee_mode 1
		.amdhsa_fp16_overflow 0
		.amdhsa_workgroup_processor_mode 1
		.amdhsa_memory_ordered 1
		.amdhsa_forward_progress 0
		.amdhsa_shared_vgpr_count 0
		.amdhsa_exception_fp_ieee_invalid_op 0
		.amdhsa_exception_fp_denorm_src 0
		.amdhsa_exception_fp_ieee_div_zero 0
		.amdhsa_exception_fp_ieee_overflow 0
		.amdhsa_exception_fp_ieee_underflow 0
		.amdhsa_exception_fp_ieee_inexact 0
		.amdhsa_exception_int_div_zero 0
	.end_amdhsa_kernel
	.section	.text._ZN9rocsparseL49gtsv_nopivot_strided_batch_pcr_pow2_shared_kernelILj8E21rocsparse_complex_numIdEEEviiiPKT0_S5_S5_PS3_,"axG",@progbits,_ZN9rocsparseL49gtsv_nopivot_strided_batch_pcr_pow2_shared_kernelILj8E21rocsparse_complex_numIdEEEviiiPKT0_S5_S5_PS3_,comdat
.Lfunc_end65:
	.size	_ZN9rocsparseL49gtsv_nopivot_strided_batch_pcr_pow2_shared_kernelILj8E21rocsparse_complex_numIdEEEviiiPKT0_S5_S5_PS3_, .Lfunc_end65-_ZN9rocsparseL49gtsv_nopivot_strided_batch_pcr_pow2_shared_kernelILj8E21rocsparse_complex_numIdEEEviiiPKT0_S5_S5_PS3_
                                        ; -- End function
	.section	.AMDGPU.csdata,"",@progbits
; Kernel info:
; codeLenInByte = 2472
; NumSgprs: 18
; NumVgprs: 60
; ScratchSize: 0
; MemoryBound: 0
; FloatMode: 240
; IeeeMode: 1
; LDSByteSize: 720 bytes/workgroup (compile time only)
; SGPRBlocks: 2
; VGPRBlocks: 7
; NumSGPRsForWavesPerEU: 18
; NumVGPRsForWavesPerEU: 60
; Occupancy: 16
; WaveLimiterHint : 0
; COMPUTE_PGM_RSRC2:SCRATCH_EN: 0
; COMPUTE_PGM_RSRC2:USER_SGPR: 15
; COMPUTE_PGM_RSRC2:TRAP_HANDLER: 0
; COMPUTE_PGM_RSRC2:TGID_X_EN: 1
; COMPUTE_PGM_RSRC2:TGID_Y_EN: 0
; COMPUTE_PGM_RSRC2:TGID_Z_EN: 0
; COMPUTE_PGM_RSRC2:TIDIG_COMP_CNT: 0
	.section	.text._ZN9rocsparseL49gtsv_nopivot_strided_batch_pcr_pow2_shared_kernelILj16E21rocsparse_complex_numIdEEEviiiPKT0_S5_S5_PS3_,"axG",@progbits,_ZN9rocsparseL49gtsv_nopivot_strided_batch_pcr_pow2_shared_kernelILj16E21rocsparse_complex_numIdEEEviiiPKT0_S5_S5_PS3_,comdat
	.globl	_ZN9rocsparseL49gtsv_nopivot_strided_batch_pcr_pow2_shared_kernelILj16E21rocsparse_complex_numIdEEEviiiPKT0_S5_S5_PS3_ ; -- Begin function _ZN9rocsparseL49gtsv_nopivot_strided_batch_pcr_pow2_shared_kernelILj16E21rocsparse_complex_numIdEEEviiiPKT0_S5_S5_PS3_
	.p2align	8
	.type	_ZN9rocsparseL49gtsv_nopivot_strided_batch_pcr_pow2_shared_kernelILj16E21rocsparse_complex_numIdEEEviiiPKT0_S5_S5_PS3_,@function
_ZN9rocsparseL49gtsv_nopivot_strided_batch_pcr_pow2_shared_kernelILj16E21rocsparse_complex_numIdEEEviiiPKT0_S5_S5_PS3_: ; @_ZN9rocsparseL49gtsv_nopivot_strided_batch_pcr_pow2_shared_kernelILj16E21rocsparse_complex_numIdEEEviiiPKT0_S5_S5_PS3_
; %bb.0:
	s_clause 0x1
	s_load_b32 s8, s[0:1], 0x8
	s_load_b256 s[0:7], s[0:1], 0x10
	v_max_u32_e32 v20, 1, v0
	s_delay_alu instid0(VALU_DEP_1) | instskip(SKIP_2) | instid1(VALU_DEP_1)
	v_lshlrev_b32_e32 v52, 4, v20
	s_waitcnt lgkmcnt(0)
	v_mad_u64_u32 v[1:2], null, s15, s8, v[0:1]
	v_ashrrev_i32_e32 v2, 31, v1
	s_delay_alu instid0(VALU_DEP_1) | instskip(NEXT) | instid1(VALU_DEP_1)
	v_lshlrev_b64 v[1:2], 4, v[1:2]
	v_add_co_u32 v3, vcc_lo, s0, v1
	s_delay_alu instid0(VALU_DEP_2)
	v_add_co_ci_u32_e32 v4, vcc_lo, s1, v2, vcc_lo
	v_add_co_u32 v8, vcc_lo, s2, v1
	v_add_co_ci_u32_e32 v9, vcc_lo, s3, v2, vcc_lo
	v_add_co_u32 v12, vcc_lo, s4, v1
	v_add_co_ci_u32_e32 v13, vcc_lo, s5, v2, vcc_lo
	v_add_co_u32 v1, vcc_lo, s6, v1
	v_add_co_ci_u32_e32 v2, vcc_lo, s7, v2, vcc_lo
	global_load_b128 v[4:7], v[3:4], off
	global_load_b128 v[8:11], v[8:9], off
	;; [unrolled: 1-line block ×4, first 2 shown]
	v_lshlrev_b32_e32 v3, 4, v0
	s_waitcnt vmcnt(3)
	ds_store_2addr_b64 v3, v[4:5], v[6:7] offset1:1
	s_waitcnt vmcnt(2)
	ds_store_2addr_b64 v3, v[8:9], v[10:11] offset0:34 offset1:35
	s_waitcnt vmcnt(1)
	ds_store_2addr_b64 v3, v[12:13], v[14:15] offset0:68 offset1:69
	;; [unrolled: 2-line block ×3, first 2 shown]
	s_waitcnt vmcnt(0) lgkmcnt(0)
	s_waitcnt_vscnt null, 0x0
	; wave barrier
	s_waitcnt lgkmcnt(0)
	buffer_gl0_inv
	ds_load_b128 v[4:7], v52 offset:256
	ds_load_b128 v[8:11], v52 offset:528
	v_min_u32_e32 v12, 14, v0
	s_delay_alu instid0(VALU_DEP_1)
	v_lshlrev_b32_e32 v54, 4, v12
	ds_load_b128 v[12:15], v54 offset:288
	ds_load_b128 v[16:19], v54 offset:16
	s_waitcnt lgkmcnt(3)
	v_mul_f64 v[20:21], v[6:7], v[6:7]
	s_waitcnt lgkmcnt(1)
	v_mul_f64 v[22:23], v[14:15], v[14:15]
	s_delay_alu instid0(VALU_DEP_2) | instskip(NEXT) | instid1(VALU_DEP_2)
	v_fma_f64 v[36:37], v[4:5], v[4:5], v[20:21]
	v_fma_f64 v[38:39], v[12:13], v[12:13], v[22:23]
	s_delay_alu instid0(VALU_DEP_2) | instskip(SKIP_1) | instid1(VALU_DEP_3)
	v_div_scale_f64 v[20:21], null, v[36:37], v[36:37], 1.0
	v_div_scale_f64 v[32:33], vcc_lo, 1.0, v[36:37], 1.0
	v_div_scale_f64 v[28:29], null, v[38:39], v[38:39], 1.0
	v_div_scale_f64 v[40:41], s0, 1.0, v[38:39], 1.0
	s_delay_alu instid0(VALU_DEP_4) | instskip(NEXT) | instid1(VALU_DEP_2)
	v_rcp_f64_e32 v[22:23], v[20:21]
	v_rcp_f64_e32 v[24:25], v[28:29]
	s_waitcnt_depctr 0xfff
	v_fma_f64 v[26:27], -v[20:21], v[22:23], 1.0
	v_fma_f64 v[30:31], -v[28:29], v[24:25], 1.0
	s_delay_alu instid0(VALU_DEP_2) | instskip(NEXT) | instid1(VALU_DEP_2)
	v_fma_f64 v[22:23], v[22:23], v[26:27], v[22:23]
	v_fma_f64 v[24:25], v[24:25], v[30:31], v[24:25]
	s_delay_alu instid0(VALU_DEP_2) | instskip(NEXT) | instid1(VALU_DEP_2)
	v_fma_f64 v[26:27], -v[20:21], v[22:23], 1.0
	v_fma_f64 v[30:31], -v[28:29], v[24:25], 1.0
	s_delay_alu instid0(VALU_DEP_2) | instskip(NEXT) | instid1(VALU_DEP_2)
	v_fma_f64 v[34:35], v[22:23], v[26:27], v[22:23]
	v_fma_f64 v[42:43], v[24:25], v[30:31], v[24:25]
	s_delay_alu instid0(VALU_DEP_2) | instskip(NEXT) | instid1(VALU_DEP_2)
	v_mul_f64 v[30:31], v[32:33], v[34:35]
	v_mul_f64 v[44:45], v[40:41], v[42:43]
	s_delay_alu instid0(VALU_DEP_2)
	v_fma_f64 v[32:33], -v[20:21], v[30:31], v[32:33]
	ds_load_b128 v[20:23], v3
	ds_load_b128 v[24:27], v3 offset:272
	v_fma_f64 v[40:41], -v[28:29], v[44:45], v[40:41]
	s_waitcnt lgkmcnt(1)
	v_mul_f64 v[46:47], v[6:7], -v[20:21]
	v_mul_f64 v[6:7], v[6:7], v[22:23]
	v_div_fmas_f64 v[48:49], v[32:33], v[34:35], v[30:31]
	ds_load_b128 v[28:31], v3 offset:544
	ds_load_b128 v[32:35], v3 offset:1088
	s_mov_b32 vcc_lo, s0
	v_div_fmas_f64 v[40:41], v[40:41], v[42:43], v[44:45]
	s_waitcnt lgkmcnt(1)
	v_mul_f64 v[50:51], v[14:15], -v[28:29]
	v_fma_f64 v[22:23], v[22:23], v[4:5], v[46:47]
	v_mul_f64 v[14:15], v[14:15], v[30:31]
	v_fma_f64 v[20:21], v[20:21], v[4:5], v[6:7]
	ds_load_b128 v[4:7], v52 offset:1072
	v_div_fixup_f64 v[36:37], v[48:49], v[36:37], 1.0
	v_div_fixup_f64 v[38:39], v[40:41], v[38:39], 1.0
	v_fma_f64 v[30:31], v[30:31], v[12:13], v[50:51]
	v_fma_f64 v[42:43], v[28:29], v[12:13], v[14:15]
	s_delay_alu instid0(VALU_DEP_4)
	v_mul_f64 v[40:41], v[36:37], v[22:23]
	v_add_nc_u32_e32 v22, -16, v52
	v_mul_f64 v[36:37], v[36:37], v[20:21]
	ds_load_b128 v[12:15], v22
	v_mul_f64 v[44:45], v[38:39], v[30:31]
	ds_load_b128 v[20:23], v54 offset:1104
	ds_load_b128 v[28:31], v54 offset:560
	v_mul_f64 v[38:39], v[38:39], v[42:43]
	s_waitcnt vmcnt(0) lgkmcnt(0)
	s_waitcnt_vscnt null, 0x0
	; wave barrier
	s_waitcnt lgkmcnt(0)
	buffer_gl0_inv
	v_mul_f64 v[46:47], v[40:41], -v[10:11]
	v_mul_f64 v[48:49], v[40:41], v[8:9]
	v_mul_f64 v[50:51], v[40:41], -v[6:7]
	v_mul_f64 v[52:53], v[40:41], v[4:5]
	;; [unrolled: 2-line block ×4, first 2 shown]
	v_fma_f64 v[8:9], v[8:9], v[36:37], v[46:47]
	v_fma_f64 v[10:11], v[10:11], v[36:37], v[48:49]
	v_fma_f64 v[4:5], v[4:5], v[36:37], v[50:51]
	v_fma_f64 v[6:7], v[6:7], v[36:37], v[52:53]
	v_mul_f64 v[46:47], v[40:41], v[14:15]
	v_mul_f64 v[40:41], v[40:41], -v[12:13]
	v_mul_f64 v[48:49], v[44:45], v[30:31]
	v_fma_f64 v[16:17], v[16:17], v[38:39], v[42:43]
	v_fma_f64 v[18:19], v[18:19], v[38:39], v[54:55]
	;; [unrolled: 1-line block ×4, first 2 shown]
	v_add_f64 v[24:25], v[24:25], -v[8:9]
	v_add_f64 v[10:11], v[26:27], -v[10:11]
	;; [unrolled: 1-line block ×4, first 2 shown]
	v_mul_f64 v[34:35], v[44:45], -v[28:29]
	v_fma_f64 v[4:5], -v[12:13], v[36:37], v[46:47]
	v_fma_f64 v[6:7], -v[14:15], v[36:37], v[40:41]
	;; [unrolled: 1-line block ×3, first 2 shown]
	v_add_f64 v[12:13], v[24:25], -v[16:17]
	v_add_f64 v[14:15], v[10:11], -v[18:19]
	;; [unrolled: 1-line block ×4, first 2 shown]
	v_fma_f64 v[10:11], -v[30:31], v[38:39], v[34:35]
	v_max_u32_e32 v20, 2, v0
	ds_store_b128 v3, v[12:15] offset:272
	ds_store_b128 v3, v[4:7]
	ds_store_b128 v3, v[16:19] offset:1088
	ds_store_b128 v3, v[8:11] offset:544
	v_lshlrev_b32_e32 v52, 4, v20
	s_waitcnt vmcnt(0) lgkmcnt(0)
	s_waitcnt_vscnt null, 0x0
	; wave barrier
	s_waitcnt lgkmcnt(0)
	buffer_gl0_inv
	ds_load_b128 v[4:7], v52 offset:240
	ds_load_b128 v[8:11], v52 offset:512
	v_min_u32_e32 v12, 13, v0
	s_delay_alu instid0(VALU_DEP_1)
	v_lshlrev_b32_e32 v54, 4, v12
	ds_load_b128 v[12:15], v54 offset:304
	ds_load_b128 v[16:19], v54 offset:32
	s_waitcnt lgkmcnt(3)
	v_mul_f64 v[20:21], v[6:7], v[6:7]
	s_waitcnt lgkmcnt(1)
	v_mul_f64 v[22:23], v[14:15], v[14:15]
	s_delay_alu instid0(VALU_DEP_2) | instskip(NEXT) | instid1(VALU_DEP_2)
	v_fma_f64 v[36:37], v[4:5], v[4:5], v[20:21]
	v_fma_f64 v[38:39], v[12:13], v[12:13], v[22:23]
	s_delay_alu instid0(VALU_DEP_2) | instskip(SKIP_1) | instid1(VALU_DEP_3)
	v_div_scale_f64 v[20:21], null, v[36:37], v[36:37], 1.0
	v_div_scale_f64 v[32:33], vcc_lo, 1.0, v[36:37], 1.0
	v_div_scale_f64 v[28:29], null, v[38:39], v[38:39], 1.0
	v_div_scale_f64 v[40:41], s0, 1.0, v[38:39], 1.0
	s_delay_alu instid0(VALU_DEP_4) | instskip(NEXT) | instid1(VALU_DEP_2)
	v_rcp_f64_e32 v[22:23], v[20:21]
	v_rcp_f64_e32 v[24:25], v[28:29]
	s_waitcnt_depctr 0xfff
	v_fma_f64 v[26:27], -v[20:21], v[22:23], 1.0
	v_fma_f64 v[30:31], -v[28:29], v[24:25], 1.0
	s_delay_alu instid0(VALU_DEP_2) | instskip(NEXT) | instid1(VALU_DEP_2)
	v_fma_f64 v[22:23], v[22:23], v[26:27], v[22:23]
	v_fma_f64 v[24:25], v[24:25], v[30:31], v[24:25]
	s_delay_alu instid0(VALU_DEP_2) | instskip(NEXT) | instid1(VALU_DEP_2)
	v_fma_f64 v[26:27], -v[20:21], v[22:23], 1.0
	v_fma_f64 v[30:31], -v[28:29], v[24:25], 1.0
	s_delay_alu instid0(VALU_DEP_2) | instskip(NEXT) | instid1(VALU_DEP_2)
	v_fma_f64 v[34:35], v[22:23], v[26:27], v[22:23]
	v_fma_f64 v[42:43], v[24:25], v[30:31], v[24:25]
	s_delay_alu instid0(VALU_DEP_2) | instskip(NEXT) | instid1(VALU_DEP_2)
	v_mul_f64 v[30:31], v[32:33], v[34:35]
	v_mul_f64 v[44:45], v[40:41], v[42:43]
	s_delay_alu instid0(VALU_DEP_2)
	v_fma_f64 v[32:33], -v[20:21], v[30:31], v[32:33]
	ds_load_b128 v[20:23], v3
	ds_load_b128 v[24:27], v3 offset:272
	v_fma_f64 v[40:41], -v[28:29], v[44:45], v[40:41]
	s_waitcnt lgkmcnt(1)
	v_mul_f64 v[46:47], v[6:7], -v[20:21]
	v_mul_f64 v[6:7], v[6:7], v[22:23]
	v_div_fmas_f64 v[48:49], v[32:33], v[34:35], v[30:31]
	ds_load_b128 v[28:31], v3 offset:544
	ds_load_b128 v[32:35], v3 offset:1088
	s_mov_b32 vcc_lo, s0
	v_div_fmas_f64 v[40:41], v[40:41], v[42:43], v[44:45]
	s_waitcnt lgkmcnt(1)
	v_mul_f64 v[50:51], v[14:15], -v[28:29]
	v_fma_f64 v[22:23], v[22:23], v[4:5], v[46:47]
	v_mul_f64 v[14:15], v[14:15], v[30:31]
	v_fma_f64 v[20:21], v[20:21], v[4:5], v[6:7]
	ds_load_b128 v[4:7], v52 offset:1056
	v_div_fixup_f64 v[36:37], v[48:49], v[36:37], 1.0
	v_div_fixup_f64 v[38:39], v[40:41], v[38:39], 1.0
	v_fma_f64 v[30:31], v[30:31], v[12:13], v[50:51]
	v_fma_f64 v[42:43], v[28:29], v[12:13], v[14:15]
	s_delay_alu instid0(VALU_DEP_4)
	v_mul_f64 v[40:41], v[36:37], v[22:23]
	v_subrev_nc_u32_e32 v22, 32, v52
	v_mul_f64 v[36:37], v[36:37], v[20:21]
	ds_load_b128 v[12:15], v22
	v_mul_f64 v[44:45], v[38:39], v[30:31]
	ds_load_b128 v[20:23], v54 offset:1120
	ds_load_b128 v[28:31], v54 offset:576
	v_mul_f64 v[38:39], v[38:39], v[42:43]
	s_waitcnt vmcnt(0) lgkmcnt(0)
	s_waitcnt_vscnt null, 0x0
	; wave barrier
	s_waitcnt lgkmcnt(0)
	buffer_gl0_inv
	v_mul_f64 v[46:47], v[40:41], -v[10:11]
	v_mul_f64 v[48:49], v[40:41], v[8:9]
	v_mul_f64 v[50:51], v[40:41], -v[6:7]
	v_mul_f64 v[52:53], v[40:41], v[4:5]
	;; [unrolled: 2-line block ×4, first 2 shown]
	v_fma_f64 v[8:9], v[8:9], v[36:37], v[46:47]
	v_fma_f64 v[10:11], v[10:11], v[36:37], v[48:49]
	;; [unrolled: 1-line block ×4, first 2 shown]
	v_mul_f64 v[46:47], v[40:41], v[14:15]
	v_mul_f64 v[40:41], v[40:41], -v[12:13]
	v_mul_f64 v[48:49], v[44:45], v[30:31]
	v_fma_f64 v[16:17], v[16:17], v[38:39], v[42:43]
	v_fma_f64 v[18:19], v[18:19], v[38:39], v[54:55]
	v_fma_f64 v[20:21], v[20:21], v[38:39], v[56:57]
	v_fma_f64 v[22:23], v[22:23], v[38:39], v[58:59]
	v_add_f64 v[24:25], v[24:25], -v[8:9]
	v_add_f64 v[10:11], v[26:27], -v[10:11]
	;; [unrolled: 1-line block ×4, first 2 shown]
	v_mul_f64 v[34:35], v[44:45], -v[28:29]
	v_fma_f64 v[4:5], -v[12:13], v[36:37], v[46:47]
	v_fma_f64 v[6:7], -v[14:15], v[36:37], v[40:41]
	;; [unrolled: 1-line block ×3, first 2 shown]
	v_add_f64 v[12:13], v[24:25], -v[16:17]
	v_add_f64 v[14:15], v[10:11], -v[18:19]
	;; [unrolled: 1-line block ×4, first 2 shown]
	v_fma_f64 v[10:11], -v[30:31], v[38:39], v[34:35]
	v_max_u32_e32 v20, 4, v0
	ds_store_b128 v3, v[12:15] offset:272
	ds_store_b128 v3, v[4:7]
	ds_store_b128 v3, v[16:19] offset:1088
	ds_store_b128 v3, v[8:11] offset:544
	v_lshlrev_b32_e32 v52, 4, v20
	s_waitcnt vmcnt(0) lgkmcnt(0)
	s_waitcnt_vscnt null, 0x0
	; wave barrier
	s_waitcnt lgkmcnt(0)
	buffer_gl0_inv
	ds_load_b128 v[4:7], v52 offset:208
	ds_load_b128 v[8:11], v52 offset:480
	v_min_u32_e32 v12, 11, v0
	s_delay_alu instid0(VALU_DEP_1)
	v_lshlrev_b32_e32 v54, 4, v12
	ds_load_b128 v[12:15], v54 offset:336
	ds_load_b128 v[16:19], v54 offset:64
	s_waitcnt lgkmcnt(3)
	v_mul_f64 v[20:21], v[6:7], v[6:7]
	s_waitcnt lgkmcnt(1)
	v_mul_f64 v[22:23], v[14:15], v[14:15]
	s_delay_alu instid0(VALU_DEP_2) | instskip(NEXT) | instid1(VALU_DEP_2)
	v_fma_f64 v[36:37], v[4:5], v[4:5], v[20:21]
	v_fma_f64 v[38:39], v[12:13], v[12:13], v[22:23]
	s_delay_alu instid0(VALU_DEP_2) | instskip(SKIP_1) | instid1(VALU_DEP_3)
	v_div_scale_f64 v[20:21], null, v[36:37], v[36:37], 1.0
	v_div_scale_f64 v[32:33], vcc_lo, 1.0, v[36:37], 1.0
	v_div_scale_f64 v[28:29], null, v[38:39], v[38:39], 1.0
	v_div_scale_f64 v[40:41], s0, 1.0, v[38:39], 1.0
	s_delay_alu instid0(VALU_DEP_4) | instskip(NEXT) | instid1(VALU_DEP_2)
	v_rcp_f64_e32 v[22:23], v[20:21]
	v_rcp_f64_e32 v[24:25], v[28:29]
	s_waitcnt_depctr 0xfff
	v_fma_f64 v[26:27], -v[20:21], v[22:23], 1.0
	v_fma_f64 v[30:31], -v[28:29], v[24:25], 1.0
	s_delay_alu instid0(VALU_DEP_2) | instskip(NEXT) | instid1(VALU_DEP_2)
	v_fma_f64 v[22:23], v[22:23], v[26:27], v[22:23]
	v_fma_f64 v[24:25], v[24:25], v[30:31], v[24:25]
	s_delay_alu instid0(VALU_DEP_2) | instskip(NEXT) | instid1(VALU_DEP_2)
	v_fma_f64 v[26:27], -v[20:21], v[22:23], 1.0
	v_fma_f64 v[30:31], -v[28:29], v[24:25], 1.0
	s_delay_alu instid0(VALU_DEP_2) | instskip(NEXT) | instid1(VALU_DEP_2)
	v_fma_f64 v[34:35], v[22:23], v[26:27], v[22:23]
	v_fma_f64 v[42:43], v[24:25], v[30:31], v[24:25]
	s_delay_alu instid0(VALU_DEP_2) | instskip(NEXT) | instid1(VALU_DEP_2)
	v_mul_f64 v[30:31], v[32:33], v[34:35]
	v_mul_f64 v[44:45], v[40:41], v[42:43]
	s_delay_alu instid0(VALU_DEP_2)
	v_fma_f64 v[32:33], -v[20:21], v[30:31], v[32:33]
	ds_load_b128 v[20:23], v3
	ds_load_b128 v[24:27], v3 offset:272
	v_fma_f64 v[40:41], -v[28:29], v[44:45], v[40:41]
	s_waitcnt lgkmcnt(1)
	v_mul_f64 v[46:47], v[6:7], -v[20:21]
	v_mul_f64 v[6:7], v[6:7], v[22:23]
	v_div_fmas_f64 v[48:49], v[32:33], v[34:35], v[30:31]
	ds_load_b128 v[28:31], v3 offset:544
	ds_load_b128 v[32:35], v3 offset:1088
	s_mov_b32 vcc_lo, s0
	s_mov_b32 s0, exec_lo
	v_div_fmas_f64 v[40:41], v[40:41], v[42:43], v[44:45]
	s_waitcnt lgkmcnt(1)
	v_mul_f64 v[50:51], v[14:15], -v[28:29]
	v_fma_f64 v[22:23], v[22:23], v[4:5], v[46:47]
	v_mul_f64 v[14:15], v[14:15], v[30:31]
	v_fma_f64 v[20:21], v[20:21], v[4:5], v[6:7]
	ds_load_b128 v[4:7], v52 offset:1024
	v_div_fixup_f64 v[36:37], v[48:49], v[36:37], 1.0
	v_div_fixup_f64 v[38:39], v[40:41], v[38:39], 1.0
	v_fma_f64 v[30:31], v[30:31], v[12:13], v[50:51]
	v_fma_f64 v[42:43], v[28:29], v[12:13], v[14:15]
	s_delay_alu instid0(VALU_DEP_4)
	v_mul_f64 v[40:41], v[36:37], v[22:23]
	v_subrev_nc_u32_e32 v22, 64, v52
	v_mul_f64 v[36:37], v[36:37], v[20:21]
	ds_load_b128 v[12:15], v22
	v_mul_f64 v[44:45], v[38:39], v[30:31]
	ds_load_b128 v[20:23], v54 offset:1152
	ds_load_b128 v[28:31], v54 offset:608
	v_mul_f64 v[38:39], v[38:39], v[42:43]
	s_waitcnt vmcnt(0) lgkmcnt(0)
	s_waitcnt_vscnt null, 0x0
	; wave barrier
	s_waitcnt lgkmcnt(0)
	buffer_gl0_inv
	v_mul_f64 v[46:47], v[40:41], -v[10:11]
	v_mul_f64 v[48:49], v[40:41], v[8:9]
	v_mul_f64 v[50:51], v[40:41], -v[6:7]
	v_mul_f64 v[52:53], v[40:41], v[4:5]
	;; [unrolled: 2-line block ×4, first 2 shown]
	v_fma_f64 v[8:9], v[8:9], v[36:37], v[46:47]
	v_fma_f64 v[10:11], v[10:11], v[36:37], v[48:49]
	;; [unrolled: 1-line block ×4, first 2 shown]
	v_mul_f64 v[46:47], v[40:41], v[14:15]
	v_mul_f64 v[40:41], v[40:41], -v[12:13]
	v_mul_f64 v[48:49], v[44:45], v[30:31]
	v_fma_f64 v[16:17], v[16:17], v[38:39], v[42:43]
	v_fma_f64 v[18:19], v[18:19], v[38:39], v[54:55]
	;; [unrolled: 1-line block ×4, first 2 shown]
	v_add_f64 v[24:25], v[24:25], -v[8:9]
	v_add_f64 v[10:11], v[26:27], -v[10:11]
	;; [unrolled: 1-line block ×4, first 2 shown]
	v_mul_f64 v[34:35], v[44:45], -v[28:29]
	v_fma_f64 v[4:5], -v[12:13], v[36:37], v[46:47]
	v_fma_f64 v[6:7], -v[14:15], v[36:37], v[40:41]
	;; [unrolled: 1-line block ×3, first 2 shown]
	v_add_f64 v[12:13], v[24:25], -v[16:17]
	v_add_f64 v[14:15], v[10:11], -v[18:19]
	;; [unrolled: 1-line block ×4, first 2 shown]
	v_fma_f64 v[10:11], -v[30:31], v[38:39], v[34:35]
	ds_store_b128 v3, v[12:15] offset:272
	ds_store_b128 v3, v[4:7]
	ds_store_b128 v3, v[16:19] offset:1088
	ds_store_b128 v3, v[8:11] offset:544
	s_waitcnt vmcnt(0) lgkmcnt(0)
	s_waitcnt_vscnt null, 0x0
	; wave barrier
	s_waitcnt lgkmcnt(0)
	buffer_gl0_inv
	v_cmpx_gt_u32_e32 8, v0
	s_cbranch_execz .LBB66_2
; %bb.1:
	v_add_nc_u32_e32 v0, 0x110, v3
	v_add_nc_u32_e32 v16, 0x220, v3
	ds_load_b128 v[4:7], v0
	ds_load_b128 v[8:11], v3 offset:128
	ds_load_b128 v[12:15], v0 offset:128
	ds_load_b128 v[16:19], v16
	v_add_nc_u32_e32 v0, 0x440, v3
	s_waitcnt lgkmcnt(1)
	v_mul_f64 v[20:21], v[6:7], v[12:13]
	s_waitcnt lgkmcnt(0)
	v_mul_f64 v[22:23], v[10:11], v[16:17]
	v_mul_f64 v[24:25], v[6:7], -v[14:15]
	v_mul_f64 v[26:27], v[10:11], -v[18:19]
	s_delay_alu instid0(VALU_DEP_4) | instskip(NEXT) | instid1(VALU_DEP_4)
	v_fma_f64 v[20:21], v[14:15], v[4:5], v[20:21]
	v_fma_f64 v[22:23], v[18:19], v[8:9], v[22:23]
	s_delay_alu instid0(VALU_DEP_4) | instskip(NEXT) | instid1(VALU_DEP_4)
	v_fma_f64 v[24:25], v[12:13], v[4:5], v[24:25]
	v_fma_f64 v[26:27], v[16:17], v[8:9], v[26:27]
	s_delay_alu instid0(VALU_DEP_3) | instskip(NEXT) | instid1(VALU_DEP_2)
	v_add_f64 v[28:29], v[20:21], -v[22:23]
	v_add_f64 v[30:31], v[24:25], -v[26:27]
	s_delay_alu instid0(VALU_DEP_2) | instskip(NEXT) | instid1(VALU_DEP_1)
	v_mul_f64 v[20:21], v[28:29], v[28:29]
	v_fma_f64 v[32:33], v[30:31], v[30:31], v[20:21]
	s_delay_alu instid0(VALU_DEP_1) | instskip(SKIP_1) | instid1(VALU_DEP_2)
	v_div_scale_f64 v[20:21], null, v[32:33], v[32:33], 1.0
	v_div_scale_f64 v[26:27], vcc_lo, 1.0, v[32:33], 1.0
	v_rcp_f64_e32 v[22:23], v[20:21]
	s_waitcnt_depctr 0xfff
	v_fma_f64 v[24:25], -v[20:21], v[22:23], 1.0
	s_delay_alu instid0(VALU_DEP_1) | instskip(NEXT) | instid1(VALU_DEP_1)
	v_fma_f64 v[22:23], v[22:23], v[24:25], v[22:23]
	v_fma_f64 v[24:25], -v[20:21], v[22:23], 1.0
	s_delay_alu instid0(VALU_DEP_1) | instskip(NEXT) | instid1(VALU_DEP_1)
	v_fma_f64 v[34:35], v[22:23], v[24:25], v[22:23]
	v_mul_f64 v[36:37], v[26:27], v[34:35]
	s_delay_alu instid0(VALU_DEP_1)
	v_fma_f64 v[38:39], -v[20:21], v[36:37], v[26:27]
	ds_load_b128 v[20:23], v0
	ds_load_b128 v[24:27], v0 offset:128
	s_waitcnt lgkmcnt(1)
	v_mul_f64 v[40:41], v[22:23], -v[14:15]
	v_mul_f64 v[42:43], v[12:13], v[22:23]
	s_waitcnt lgkmcnt(0)
	v_mul_f64 v[44:45], v[26:27], -v[18:19]
	v_mul_f64 v[46:47], v[16:17], v[26:27]
	v_mul_f64 v[48:49], v[6:7], -v[26:27]
	v_mul_f64 v[6:7], v[6:7], v[24:25]
	v_div_fmas_f64 v[34:35], v[38:39], v[34:35], v[36:37]
	v_mul_f64 v[36:37], v[10:11], v[20:21]
	v_mul_f64 v[10:11], v[10:11], -v[22:23]
	v_fma_f64 v[38:39], v[30:31], 0, -v[28:29]
	v_fma_f64 v[12:13], v[12:13], v[20:21], v[40:41]
	v_fma_f64 v[14:15], v[14:15], v[20:21], v[42:43]
	;; [unrolled: 1-line block ×6, first 2 shown]
	v_div_fixup_f64 v[32:33], v[34:35], v[32:33], 1.0
	v_fma_f64 v[6:7], v[22:23], v[8:9], v[36:37]
	v_fma_f64 v[8:9], v[20:21], v[8:9], v[10:11]
	v_add_f64 v[12:13], v[12:13], -v[16:17]
	v_add_f64 v[10:11], v[14:15], -v[18:19]
	v_fma_f64 v[14:15], v[28:29], 0, v[30:31]
	v_mul_f64 v[18:19], v[38:39], v[32:33]
	v_add_f64 v[16:17], v[4:5], -v[6:7]
	v_add_f64 v[8:9], v[24:25], -v[8:9]
	s_delay_alu instid0(VALU_DEP_4) | instskip(NEXT) | instid1(VALU_DEP_4)
	v_mul_f64 v[14:15], v[14:15], v[32:33]
	v_mul_f64 v[4:5], v[18:19], -v[10:11]
	v_mul_f64 v[6:7], v[18:19], v[12:13]
	v_mul_f64 v[20:21], v[18:19], -v[16:17]
	v_mul_f64 v[18:19], v[18:19], v[8:9]
	s_delay_alu instid0(VALU_DEP_4) | instskip(NEXT) | instid1(VALU_DEP_4)
	v_fma_f64 v[4:5], v[12:13], v[14:15], v[4:5]
	v_fma_f64 v[6:7], v[10:11], v[14:15], v[6:7]
	s_delay_alu instid0(VALU_DEP_4) | instskip(NEXT) | instid1(VALU_DEP_4)
	v_fma_f64 v[8:9], v[8:9], v[14:15], v[20:21]
	v_fma_f64 v[10:11], v[16:17], v[14:15], v[18:19]
	ds_store_b128 v3, v[4:7] offset:816
	ds_store_b128 v3, v[8:11] offset:944
.LBB66_2:
	s_or_b32 exec_lo, exec_lo, s0
	s_waitcnt vmcnt(0) lgkmcnt(0)
	s_waitcnt_vscnt null, 0x0
	; wave barrier
	s_waitcnt lgkmcnt(0)
	buffer_gl0_inv
	ds_load_2addr_b64 v[3:6], v3 offset0:102 offset1:103
	s_waitcnt lgkmcnt(0)
	global_store_b128 v[1:2], v[3:6], off
	s_nop 0
	s_sendmsg sendmsg(MSG_DEALLOC_VGPRS)
	s_endpgm
	.section	.rodata,"a",@progbits
	.p2align	6, 0x0
	.amdhsa_kernel _ZN9rocsparseL49gtsv_nopivot_strided_batch_pcr_pow2_shared_kernelILj16E21rocsparse_complex_numIdEEEviiiPKT0_S5_S5_PS3_
		.amdhsa_group_segment_fixed_size 1360
		.amdhsa_private_segment_fixed_size 0
		.amdhsa_kernarg_size 48
		.amdhsa_user_sgpr_count 15
		.amdhsa_user_sgpr_dispatch_ptr 0
		.amdhsa_user_sgpr_queue_ptr 0
		.amdhsa_user_sgpr_kernarg_segment_ptr 1
		.amdhsa_user_sgpr_dispatch_id 0
		.amdhsa_user_sgpr_private_segment_size 0
		.amdhsa_wavefront_size32 1
		.amdhsa_uses_dynamic_stack 0
		.amdhsa_enable_private_segment 0
		.amdhsa_system_sgpr_workgroup_id_x 1
		.amdhsa_system_sgpr_workgroup_id_y 0
		.amdhsa_system_sgpr_workgroup_id_z 0
		.amdhsa_system_sgpr_workgroup_info 0
		.amdhsa_system_vgpr_workitem_id 0
		.amdhsa_next_free_vgpr 60
		.amdhsa_next_free_sgpr 16
		.amdhsa_reserve_vcc 1
		.amdhsa_float_round_mode_32 0
		.amdhsa_float_round_mode_16_64 0
		.amdhsa_float_denorm_mode_32 3
		.amdhsa_float_denorm_mode_16_64 3
		.amdhsa_dx10_clamp 1
		.amdhsa_ieee_mode 1
		.amdhsa_fp16_overflow 0
		.amdhsa_workgroup_processor_mode 1
		.amdhsa_memory_ordered 1
		.amdhsa_forward_progress 0
		.amdhsa_shared_vgpr_count 0
		.amdhsa_exception_fp_ieee_invalid_op 0
		.amdhsa_exception_fp_denorm_src 0
		.amdhsa_exception_fp_ieee_div_zero 0
		.amdhsa_exception_fp_ieee_overflow 0
		.amdhsa_exception_fp_ieee_underflow 0
		.amdhsa_exception_fp_ieee_inexact 0
		.amdhsa_exception_int_div_zero 0
	.end_amdhsa_kernel
	.section	.text._ZN9rocsparseL49gtsv_nopivot_strided_batch_pcr_pow2_shared_kernelILj16E21rocsparse_complex_numIdEEEviiiPKT0_S5_S5_PS3_,"axG",@progbits,_ZN9rocsparseL49gtsv_nopivot_strided_batch_pcr_pow2_shared_kernelILj16E21rocsparse_complex_numIdEEEviiiPKT0_S5_S5_PS3_,comdat
.Lfunc_end66:
	.size	_ZN9rocsparseL49gtsv_nopivot_strided_batch_pcr_pow2_shared_kernelILj16E21rocsparse_complex_numIdEEEviiiPKT0_S5_S5_PS3_, .Lfunc_end66-_ZN9rocsparseL49gtsv_nopivot_strided_batch_pcr_pow2_shared_kernelILj16E21rocsparse_complex_numIdEEEviiiPKT0_S5_S5_PS3_
                                        ; -- End function
	.section	.AMDGPU.csdata,"",@progbits
; Kernel info:
; codeLenInByte = 3276
; NumSgprs: 18
; NumVgprs: 60
; ScratchSize: 0
; MemoryBound: 0
; FloatMode: 240
; IeeeMode: 1
; LDSByteSize: 1360 bytes/workgroup (compile time only)
; SGPRBlocks: 2
; VGPRBlocks: 7
; NumSGPRsForWavesPerEU: 18
; NumVGPRsForWavesPerEU: 60
; Occupancy: 16
; WaveLimiterHint : 0
; COMPUTE_PGM_RSRC2:SCRATCH_EN: 0
; COMPUTE_PGM_RSRC2:USER_SGPR: 15
; COMPUTE_PGM_RSRC2:TRAP_HANDLER: 0
; COMPUTE_PGM_RSRC2:TGID_X_EN: 1
; COMPUTE_PGM_RSRC2:TGID_Y_EN: 0
; COMPUTE_PGM_RSRC2:TGID_Z_EN: 0
; COMPUTE_PGM_RSRC2:TIDIG_COMP_CNT: 0
	.section	.text._ZN9rocsparseL49gtsv_nopivot_strided_batch_pcr_pow2_shared_kernelILj32E21rocsparse_complex_numIdEEEviiiPKT0_S5_S5_PS3_,"axG",@progbits,_ZN9rocsparseL49gtsv_nopivot_strided_batch_pcr_pow2_shared_kernelILj32E21rocsparse_complex_numIdEEEviiiPKT0_S5_S5_PS3_,comdat
	.globl	_ZN9rocsparseL49gtsv_nopivot_strided_batch_pcr_pow2_shared_kernelILj32E21rocsparse_complex_numIdEEEviiiPKT0_S5_S5_PS3_ ; -- Begin function _ZN9rocsparseL49gtsv_nopivot_strided_batch_pcr_pow2_shared_kernelILj32E21rocsparse_complex_numIdEEEviiiPKT0_S5_S5_PS3_
	.p2align	8
	.type	_ZN9rocsparseL49gtsv_nopivot_strided_batch_pcr_pow2_shared_kernelILj32E21rocsparse_complex_numIdEEEviiiPKT0_S5_S5_PS3_,@function
_ZN9rocsparseL49gtsv_nopivot_strided_batch_pcr_pow2_shared_kernelILj32E21rocsparse_complex_numIdEEEviiiPKT0_S5_S5_PS3_: ; @_ZN9rocsparseL49gtsv_nopivot_strided_batch_pcr_pow2_shared_kernelILj32E21rocsparse_complex_numIdEEEviiiPKT0_S5_S5_PS3_
; %bb.0:
	s_clause 0x1
	s_load_b32 s8, s[0:1], 0x8
	s_load_b256 s[0:7], s[0:1], 0x10
	v_max_u32_e32 v21, 1, v0
	s_delay_alu instid0(VALU_DEP_1) | instskip(SKIP_2) | instid1(VALU_DEP_1)
	v_lshlrev_b32_e32 v53, 4, v21
	s_waitcnt lgkmcnt(0)
	v_mad_u64_u32 v[1:2], null, s15, s8, v[0:1]
	v_ashrrev_i32_e32 v2, 31, v1
	s_delay_alu instid0(VALU_DEP_1) | instskip(NEXT) | instid1(VALU_DEP_1)
	v_lshlrev_b64 v[1:2], 4, v[1:2]
	v_add_co_u32 v3, vcc_lo, s0, v1
	s_delay_alu instid0(VALU_DEP_2)
	v_add_co_ci_u32_e32 v4, vcc_lo, s1, v2, vcc_lo
	v_add_co_u32 v9, vcc_lo, s2, v1
	v_add_co_ci_u32_e32 v10, vcc_lo, s3, v2, vcc_lo
	v_add_co_u32 v13, vcc_lo, s4, v1
	v_add_co_ci_u32_e32 v14, vcc_lo, s5, v2, vcc_lo
	v_add_co_u32 v1, vcc_lo, s6, v1
	v_add_co_ci_u32_e32 v2, vcc_lo, s7, v2, vcc_lo
	global_load_b128 v[5:8], v[3:4], off
	global_load_b128 v[9:12], v[9:10], off
	;; [unrolled: 1-line block ×4, first 2 shown]
	v_lshlrev_b32_e32 v3, 4, v0
	s_delay_alu instid0(VALU_DEP_1)
	v_add_nc_u32_e32 v4, 0x840, v3
	s_waitcnt vmcnt(3)
	ds_store_2addr_b64 v3, v[5:6], v[7:8] offset1:1
	s_waitcnt vmcnt(2)
	ds_store_2addr_b64 v3, v[9:10], v[11:12] offset0:66 offset1:67
	s_waitcnt vmcnt(1)
	ds_store_2addr_b64 v3, v[13:14], v[15:16] offset0:132 offset1:133
	s_waitcnt vmcnt(0)
	ds_store_2addr_b64 v4, v[17:18], v[19:20] offset1:1
	s_waitcnt vmcnt(0) lgkmcnt(0)
	s_waitcnt_vscnt null, 0x0
	; wave barrier
	s_waitcnt lgkmcnt(0)
	buffer_gl0_inv
	ds_load_b128 v[5:8], v53 offset:512
	ds_load_b128 v[9:12], v53 offset:1040
	v_min_u32_e32 v13, 30, v0
	s_delay_alu instid0(VALU_DEP_1)
	v_lshlrev_b32_e32 v55, 4, v13
	ds_load_b128 v[13:16], v55 offset:544
	ds_load_b128 v[17:20], v55 offset:16
	s_waitcnt lgkmcnt(3)
	v_mul_f64 v[21:22], v[7:8], v[7:8]
	s_waitcnt lgkmcnt(1)
	v_mul_f64 v[23:24], v[15:16], v[15:16]
	s_delay_alu instid0(VALU_DEP_2) | instskip(NEXT) | instid1(VALU_DEP_2)
	v_fma_f64 v[37:38], v[5:6], v[5:6], v[21:22]
	v_fma_f64 v[39:40], v[13:14], v[13:14], v[23:24]
	s_delay_alu instid0(VALU_DEP_2) | instskip(SKIP_1) | instid1(VALU_DEP_3)
	v_div_scale_f64 v[21:22], null, v[37:38], v[37:38], 1.0
	v_div_scale_f64 v[33:34], vcc_lo, 1.0, v[37:38], 1.0
	v_div_scale_f64 v[29:30], null, v[39:40], v[39:40], 1.0
	v_div_scale_f64 v[41:42], s0, 1.0, v[39:40], 1.0
	s_delay_alu instid0(VALU_DEP_4) | instskip(NEXT) | instid1(VALU_DEP_2)
	v_rcp_f64_e32 v[23:24], v[21:22]
	v_rcp_f64_e32 v[25:26], v[29:30]
	s_waitcnt_depctr 0xfff
	v_fma_f64 v[27:28], -v[21:22], v[23:24], 1.0
	v_fma_f64 v[31:32], -v[29:30], v[25:26], 1.0
	s_delay_alu instid0(VALU_DEP_2) | instskip(NEXT) | instid1(VALU_DEP_2)
	v_fma_f64 v[23:24], v[23:24], v[27:28], v[23:24]
	v_fma_f64 v[25:26], v[25:26], v[31:32], v[25:26]
	s_delay_alu instid0(VALU_DEP_2) | instskip(NEXT) | instid1(VALU_DEP_2)
	v_fma_f64 v[27:28], -v[21:22], v[23:24], 1.0
	v_fma_f64 v[31:32], -v[29:30], v[25:26], 1.0
	s_delay_alu instid0(VALU_DEP_2) | instskip(NEXT) | instid1(VALU_DEP_2)
	v_fma_f64 v[35:36], v[23:24], v[27:28], v[23:24]
	v_fma_f64 v[43:44], v[25:26], v[31:32], v[25:26]
	s_delay_alu instid0(VALU_DEP_2) | instskip(NEXT) | instid1(VALU_DEP_2)
	v_mul_f64 v[31:32], v[33:34], v[35:36]
	v_mul_f64 v[45:46], v[41:42], v[43:44]
	s_delay_alu instid0(VALU_DEP_2)
	v_fma_f64 v[33:34], -v[21:22], v[31:32], v[33:34]
	ds_load_b128 v[21:24], v3
	ds_load_b128 v[25:28], v3 offset:528
	v_fma_f64 v[41:42], -v[29:30], v[45:46], v[41:42]
	s_waitcnt lgkmcnt(1)
	v_mul_f64 v[47:48], v[7:8], -v[21:22]
	v_mul_f64 v[7:8], v[7:8], v[23:24]
	v_div_fmas_f64 v[49:50], v[33:34], v[35:36], v[31:32]
	ds_load_b128 v[29:32], v3 offset:1056
	ds_load_b128 v[33:36], v3 offset:2112
	s_mov_b32 vcc_lo, s0
	v_div_fmas_f64 v[41:42], v[41:42], v[43:44], v[45:46]
	s_waitcnt lgkmcnt(1)
	v_mul_f64 v[51:52], v[15:16], -v[29:30]
	v_fma_f64 v[23:24], v[23:24], v[5:6], v[47:48]
	v_mul_f64 v[15:16], v[15:16], v[31:32]
	v_fma_f64 v[21:22], v[21:22], v[5:6], v[7:8]
	ds_load_b128 v[5:8], v53 offset:2096
	v_div_fixup_f64 v[37:38], v[49:50], v[37:38], 1.0
	v_div_fixup_f64 v[39:40], v[41:42], v[39:40], 1.0
	v_fma_f64 v[31:32], v[31:32], v[13:14], v[51:52]
	v_fma_f64 v[43:44], v[29:30], v[13:14], v[15:16]
	s_delay_alu instid0(VALU_DEP_4)
	v_mul_f64 v[41:42], v[37:38], v[23:24]
	v_add_nc_u32_e32 v23, -16, v53
	v_mul_f64 v[37:38], v[37:38], v[21:22]
	ds_load_b128 v[13:16], v23
	v_mul_f64 v[45:46], v[39:40], v[31:32]
	ds_load_b128 v[21:24], v55 offset:2128
	ds_load_b128 v[29:32], v55 offset:1072
	v_mul_f64 v[39:40], v[39:40], v[43:44]
	s_waitcnt vmcnt(0) lgkmcnt(0)
	s_waitcnt_vscnt null, 0x0
	; wave barrier
	s_waitcnt lgkmcnt(0)
	buffer_gl0_inv
	v_mul_f64 v[47:48], v[41:42], -v[11:12]
	v_mul_f64 v[49:50], v[41:42], v[9:10]
	v_mul_f64 v[51:52], v[41:42], -v[7:8]
	v_mul_f64 v[53:54], v[41:42], v[5:6]
	v_mul_f64 v[43:44], v[45:46], -v[19:20]
	v_mul_f64 v[55:56], v[45:46], v[17:18]
	v_mul_f64 v[57:58], v[45:46], -v[23:24]
	v_mul_f64 v[59:60], v[45:46], v[21:22]
	v_fma_f64 v[9:10], v[9:10], v[37:38], v[47:48]
	v_fma_f64 v[11:12], v[11:12], v[37:38], v[49:50]
	;; [unrolled: 1-line block ×4, first 2 shown]
	v_mul_f64 v[47:48], v[41:42], v[15:16]
	v_mul_f64 v[41:42], v[41:42], -v[13:14]
	v_mul_f64 v[49:50], v[45:46], v[31:32]
	v_fma_f64 v[17:18], v[17:18], v[39:40], v[43:44]
	v_fma_f64 v[19:20], v[19:20], v[39:40], v[55:56]
	;; [unrolled: 1-line block ×4, first 2 shown]
	v_add_f64 v[25:26], v[25:26], -v[9:10]
	v_add_f64 v[11:12], v[27:28], -v[11:12]
	;; [unrolled: 1-line block ×4, first 2 shown]
	v_mul_f64 v[35:36], v[45:46], -v[29:30]
	v_fma_f64 v[5:6], -v[13:14], v[37:38], v[47:48]
	v_fma_f64 v[7:8], -v[15:16], v[37:38], v[41:42]
	;; [unrolled: 1-line block ×3, first 2 shown]
	v_add_f64 v[13:14], v[25:26], -v[17:18]
	v_add_f64 v[15:16], v[11:12], -v[19:20]
	v_add_f64 v[17:18], v[27:28], -v[21:22]
	v_add_f64 v[19:20], v[33:34], -v[23:24]
	v_fma_f64 v[11:12], -v[31:32], v[39:40], v[35:36]
	v_max_u32_e32 v21, 2, v0
	ds_store_b128 v3, v[13:16] offset:528
	ds_store_b128 v3, v[5:8]
	ds_store_b128 v3, v[17:20] offset:2112
	ds_store_b128 v3, v[9:12] offset:1056
	v_lshlrev_b32_e32 v53, 4, v21
	s_waitcnt vmcnt(0) lgkmcnt(0)
	s_waitcnt_vscnt null, 0x0
	; wave barrier
	s_waitcnt lgkmcnt(0)
	buffer_gl0_inv
	ds_load_b128 v[5:8], v53 offset:496
	ds_load_b128 v[9:12], v53 offset:1024
	v_min_u32_e32 v13, 29, v0
	s_delay_alu instid0(VALU_DEP_1)
	v_lshlrev_b32_e32 v55, 4, v13
	ds_load_b128 v[13:16], v55 offset:560
	ds_load_b128 v[17:20], v55 offset:32
	s_waitcnt lgkmcnt(3)
	v_mul_f64 v[21:22], v[7:8], v[7:8]
	s_waitcnt lgkmcnt(1)
	v_mul_f64 v[23:24], v[15:16], v[15:16]
	s_delay_alu instid0(VALU_DEP_2) | instskip(NEXT) | instid1(VALU_DEP_2)
	v_fma_f64 v[37:38], v[5:6], v[5:6], v[21:22]
	v_fma_f64 v[39:40], v[13:14], v[13:14], v[23:24]
	s_delay_alu instid0(VALU_DEP_2) | instskip(SKIP_1) | instid1(VALU_DEP_3)
	v_div_scale_f64 v[21:22], null, v[37:38], v[37:38], 1.0
	v_div_scale_f64 v[33:34], vcc_lo, 1.0, v[37:38], 1.0
	v_div_scale_f64 v[29:30], null, v[39:40], v[39:40], 1.0
	v_div_scale_f64 v[41:42], s0, 1.0, v[39:40], 1.0
	s_delay_alu instid0(VALU_DEP_4) | instskip(NEXT) | instid1(VALU_DEP_2)
	v_rcp_f64_e32 v[23:24], v[21:22]
	v_rcp_f64_e32 v[25:26], v[29:30]
	s_waitcnt_depctr 0xfff
	v_fma_f64 v[27:28], -v[21:22], v[23:24], 1.0
	v_fma_f64 v[31:32], -v[29:30], v[25:26], 1.0
	s_delay_alu instid0(VALU_DEP_2) | instskip(NEXT) | instid1(VALU_DEP_2)
	v_fma_f64 v[23:24], v[23:24], v[27:28], v[23:24]
	v_fma_f64 v[25:26], v[25:26], v[31:32], v[25:26]
	s_delay_alu instid0(VALU_DEP_2) | instskip(NEXT) | instid1(VALU_DEP_2)
	v_fma_f64 v[27:28], -v[21:22], v[23:24], 1.0
	v_fma_f64 v[31:32], -v[29:30], v[25:26], 1.0
	s_delay_alu instid0(VALU_DEP_2) | instskip(NEXT) | instid1(VALU_DEP_2)
	v_fma_f64 v[35:36], v[23:24], v[27:28], v[23:24]
	v_fma_f64 v[43:44], v[25:26], v[31:32], v[25:26]
	s_delay_alu instid0(VALU_DEP_2) | instskip(NEXT) | instid1(VALU_DEP_2)
	v_mul_f64 v[31:32], v[33:34], v[35:36]
	v_mul_f64 v[45:46], v[41:42], v[43:44]
	s_delay_alu instid0(VALU_DEP_2)
	v_fma_f64 v[33:34], -v[21:22], v[31:32], v[33:34]
	ds_load_b128 v[21:24], v3
	ds_load_b128 v[25:28], v3 offset:528
	v_fma_f64 v[41:42], -v[29:30], v[45:46], v[41:42]
	s_waitcnt lgkmcnt(1)
	v_mul_f64 v[47:48], v[7:8], -v[21:22]
	v_mul_f64 v[7:8], v[7:8], v[23:24]
	v_div_fmas_f64 v[49:50], v[33:34], v[35:36], v[31:32]
	ds_load_b128 v[29:32], v3 offset:1056
	ds_load_b128 v[33:36], v3 offset:2112
	s_mov_b32 vcc_lo, s0
	v_div_fmas_f64 v[41:42], v[41:42], v[43:44], v[45:46]
	s_waitcnt lgkmcnt(1)
	v_mul_f64 v[51:52], v[15:16], -v[29:30]
	v_fma_f64 v[23:24], v[23:24], v[5:6], v[47:48]
	v_mul_f64 v[15:16], v[15:16], v[31:32]
	v_fma_f64 v[21:22], v[21:22], v[5:6], v[7:8]
	ds_load_b128 v[5:8], v53 offset:2080
	v_div_fixup_f64 v[37:38], v[49:50], v[37:38], 1.0
	v_div_fixup_f64 v[39:40], v[41:42], v[39:40], 1.0
	v_fma_f64 v[31:32], v[31:32], v[13:14], v[51:52]
	v_fma_f64 v[43:44], v[29:30], v[13:14], v[15:16]
	s_delay_alu instid0(VALU_DEP_4)
	v_mul_f64 v[41:42], v[37:38], v[23:24]
	v_subrev_nc_u32_e32 v23, 32, v53
	v_mul_f64 v[37:38], v[37:38], v[21:22]
	ds_load_b128 v[13:16], v23
	v_mul_f64 v[45:46], v[39:40], v[31:32]
	ds_load_b128 v[21:24], v55 offset:2144
	ds_load_b128 v[29:32], v55 offset:1088
	v_mul_f64 v[39:40], v[39:40], v[43:44]
	s_waitcnt vmcnt(0) lgkmcnt(0)
	s_waitcnt_vscnt null, 0x0
	; wave barrier
	s_waitcnt lgkmcnt(0)
	buffer_gl0_inv
	v_mul_f64 v[47:48], v[41:42], -v[11:12]
	v_mul_f64 v[49:50], v[41:42], v[9:10]
	v_mul_f64 v[51:52], v[41:42], -v[7:8]
	v_mul_f64 v[53:54], v[41:42], v[5:6]
	;; [unrolled: 2-line block ×4, first 2 shown]
	v_fma_f64 v[9:10], v[9:10], v[37:38], v[47:48]
	v_fma_f64 v[11:12], v[11:12], v[37:38], v[49:50]
	v_fma_f64 v[5:6], v[5:6], v[37:38], v[51:52]
	v_fma_f64 v[7:8], v[7:8], v[37:38], v[53:54]
	v_mul_f64 v[47:48], v[41:42], v[15:16]
	v_mul_f64 v[41:42], v[41:42], -v[13:14]
	v_mul_f64 v[49:50], v[45:46], v[31:32]
	v_fma_f64 v[17:18], v[17:18], v[39:40], v[43:44]
	v_fma_f64 v[19:20], v[19:20], v[39:40], v[55:56]
	;; [unrolled: 1-line block ×4, first 2 shown]
	v_add_f64 v[25:26], v[25:26], -v[9:10]
	v_add_f64 v[11:12], v[27:28], -v[11:12]
	;; [unrolled: 1-line block ×4, first 2 shown]
	v_mul_f64 v[35:36], v[45:46], -v[29:30]
	v_fma_f64 v[5:6], -v[13:14], v[37:38], v[47:48]
	v_fma_f64 v[7:8], -v[15:16], v[37:38], v[41:42]
	;; [unrolled: 1-line block ×3, first 2 shown]
	v_add_f64 v[13:14], v[25:26], -v[17:18]
	v_add_f64 v[15:16], v[11:12], -v[19:20]
	;; [unrolled: 1-line block ×4, first 2 shown]
	v_fma_f64 v[11:12], -v[31:32], v[39:40], v[35:36]
	v_max_u32_e32 v21, 4, v0
	ds_store_b128 v3, v[13:16] offset:528
	ds_store_b128 v3, v[5:8]
	ds_store_b128 v3, v[17:20] offset:2112
	ds_store_b128 v3, v[9:12] offset:1056
	v_lshlrev_b32_e32 v53, 4, v21
	s_waitcnt vmcnt(0) lgkmcnt(0)
	s_waitcnt_vscnt null, 0x0
	; wave barrier
	s_waitcnt lgkmcnt(0)
	buffer_gl0_inv
	ds_load_b128 v[5:8], v53 offset:464
	ds_load_b128 v[9:12], v53 offset:992
	v_min_u32_e32 v13, 27, v0
	s_delay_alu instid0(VALU_DEP_1)
	v_lshlrev_b32_e32 v55, 4, v13
	ds_load_b128 v[13:16], v55 offset:592
	ds_load_b128 v[17:20], v55 offset:64
	s_waitcnt lgkmcnt(3)
	v_mul_f64 v[21:22], v[7:8], v[7:8]
	s_waitcnt lgkmcnt(1)
	v_mul_f64 v[23:24], v[15:16], v[15:16]
	s_delay_alu instid0(VALU_DEP_2) | instskip(NEXT) | instid1(VALU_DEP_2)
	v_fma_f64 v[37:38], v[5:6], v[5:6], v[21:22]
	v_fma_f64 v[39:40], v[13:14], v[13:14], v[23:24]
	s_delay_alu instid0(VALU_DEP_2) | instskip(SKIP_1) | instid1(VALU_DEP_3)
	v_div_scale_f64 v[21:22], null, v[37:38], v[37:38], 1.0
	v_div_scale_f64 v[33:34], vcc_lo, 1.0, v[37:38], 1.0
	v_div_scale_f64 v[29:30], null, v[39:40], v[39:40], 1.0
	v_div_scale_f64 v[41:42], s0, 1.0, v[39:40], 1.0
	s_delay_alu instid0(VALU_DEP_4) | instskip(NEXT) | instid1(VALU_DEP_2)
	v_rcp_f64_e32 v[23:24], v[21:22]
	v_rcp_f64_e32 v[25:26], v[29:30]
	s_waitcnt_depctr 0xfff
	v_fma_f64 v[27:28], -v[21:22], v[23:24], 1.0
	v_fma_f64 v[31:32], -v[29:30], v[25:26], 1.0
	s_delay_alu instid0(VALU_DEP_2) | instskip(NEXT) | instid1(VALU_DEP_2)
	v_fma_f64 v[23:24], v[23:24], v[27:28], v[23:24]
	v_fma_f64 v[25:26], v[25:26], v[31:32], v[25:26]
	s_delay_alu instid0(VALU_DEP_2) | instskip(NEXT) | instid1(VALU_DEP_2)
	v_fma_f64 v[27:28], -v[21:22], v[23:24], 1.0
	v_fma_f64 v[31:32], -v[29:30], v[25:26], 1.0
	s_delay_alu instid0(VALU_DEP_2) | instskip(NEXT) | instid1(VALU_DEP_2)
	v_fma_f64 v[35:36], v[23:24], v[27:28], v[23:24]
	v_fma_f64 v[43:44], v[25:26], v[31:32], v[25:26]
	s_delay_alu instid0(VALU_DEP_2) | instskip(NEXT) | instid1(VALU_DEP_2)
	v_mul_f64 v[31:32], v[33:34], v[35:36]
	v_mul_f64 v[45:46], v[41:42], v[43:44]
	s_delay_alu instid0(VALU_DEP_2)
	v_fma_f64 v[33:34], -v[21:22], v[31:32], v[33:34]
	ds_load_b128 v[21:24], v3
	ds_load_b128 v[25:28], v3 offset:528
	v_fma_f64 v[41:42], -v[29:30], v[45:46], v[41:42]
	s_waitcnt lgkmcnt(1)
	v_mul_f64 v[47:48], v[7:8], -v[21:22]
	v_mul_f64 v[7:8], v[7:8], v[23:24]
	v_div_fmas_f64 v[49:50], v[33:34], v[35:36], v[31:32]
	ds_load_b128 v[29:32], v3 offset:1056
	ds_load_b128 v[33:36], v3 offset:2112
	s_mov_b32 vcc_lo, s0
	v_div_fmas_f64 v[41:42], v[41:42], v[43:44], v[45:46]
	s_waitcnt lgkmcnt(1)
	v_mul_f64 v[51:52], v[15:16], -v[29:30]
	v_fma_f64 v[23:24], v[23:24], v[5:6], v[47:48]
	v_mul_f64 v[15:16], v[15:16], v[31:32]
	v_fma_f64 v[21:22], v[21:22], v[5:6], v[7:8]
	ds_load_b128 v[5:8], v53 offset:2048
	v_div_fixup_f64 v[37:38], v[49:50], v[37:38], 1.0
	v_div_fixup_f64 v[39:40], v[41:42], v[39:40], 1.0
	v_fma_f64 v[31:32], v[31:32], v[13:14], v[51:52]
	v_fma_f64 v[43:44], v[29:30], v[13:14], v[15:16]
	s_delay_alu instid0(VALU_DEP_4)
	v_mul_f64 v[41:42], v[37:38], v[23:24]
	v_subrev_nc_u32_e32 v23, 64, v53
	v_mul_f64 v[37:38], v[37:38], v[21:22]
	ds_load_b128 v[13:16], v23
	v_mul_f64 v[45:46], v[39:40], v[31:32]
	ds_load_b128 v[21:24], v55 offset:2176
	ds_load_b128 v[29:32], v55 offset:1120
	v_mul_f64 v[39:40], v[39:40], v[43:44]
	s_waitcnt vmcnt(0) lgkmcnt(0)
	s_waitcnt_vscnt null, 0x0
	; wave barrier
	s_waitcnt lgkmcnt(0)
	buffer_gl0_inv
	v_mul_f64 v[47:48], v[41:42], -v[11:12]
	v_mul_f64 v[49:50], v[41:42], v[9:10]
	v_mul_f64 v[51:52], v[41:42], -v[7:8]
	v_mul_f64 v[53:54], v[41:42], v[5:6]
	;; [unrolled: 2-line block ×4, first 2 shown]
	v_fma_f64 v[9:10], v[9:10], v[37:38], v[47:48]
	v_fma_f64 v[11:12], v[11:12], v[37:38], v[49:50]
	;; [unrolled: 1-line block ×4, first 2 shown]
	v_mul_f64 v[47:48], v[41:42], v[15:16]
	v_mul_f64 v[41:42], v[41:42], -v[13:14]
	v_mul_f64 v[49:50], v[45:46], v[31:32]
	v_fma_f64 v[17:18], v[17:18], v[39:40], v[43:44]
	v_fma_f64 v[19:20], v[19:20], v[39:40], v[55:56]
	;; [unrolled: 1-line block ×4, first 2 shown]
	v_add_f64 v[25:26], v[25:26], -v[9:10]
	v_add_f64 v[11:12], v[27:28], -v[11:12]
	;; [unrolled: 1-line block ×4, first 2 shown]
	v_mul_f64 v[35:36], v[45:46], -v[29:30]
	v_fma_f64 v[5:6], -v[13:14], v[37:38], v[47:48]
	v_fma_f64 v[7:8], -v[15:16], v[37:38], v[41:42]
	;; [unrolled: 1-line block ×3, first 2 shown]
	v_add_f64 v[13:14], v[25:26], -v[17:18]
	v_add_f64 v[15:16], v[11:12], -v[19:20]
	;; [unrolled: 1-line block ×4, first 2 shown]
	v_fma_f64 v[11:12], -v[31:32], v[39:40], v[35:36]
	v_max_u32_e32 v21, 8, v0
	ds_store_b128 v3, v[13:16] offset:528
	ds_store_b128 v3, v[5:8]
	ds_store_b128 v3, v[17:20] offset:2112
	ds_store_b128 v3, v[9:12] offset:1056
	v_lshlrev_b32_e32 v53, 4, v21
	s_waitcnt vmcnt(0) lgkmcnt(0)
	s_waitcnt_vscnt null, 0x0
	; wave barrier
	s_waitcnt lgkmcnt(0)
	buffer_gl0_inv
	ds_load_b128 v[5:8], v53 offset:400
	ds_load_b128 v[9:12], v53 offset:928
	v_min_u32_e32 v13, 23, v0
	s_delay_alu instid0(VALU_DEP_1)
	v_lshlrev_b32_e32 v55, 4, v13
	ds_load_b128 v[13:16], v55 offset:656
	ds_load_b128 v[17:20], v55 offset:128
	s_waitcnt lgkmcnt(3)
	v_mul_f64 v[21:22], v[7:8], v[7:8]
	s_waitcnt lgkmcnt(1)
	v_mul_f64 v[23:24], v[15:16], v[15:16]
	s_delay_alu instid0(VALU_DEP_2) | instskip(NEXT) | instid1(VALU_DEP_2)
	v_fma_f64 v[37:38], v[5:6], v[5:6], v[21:22]
	v_fma_f64 v[39:40], v[13:14], v[13:14], v[23:24]
	s_delay_alu instid0(VALU_DEP_2) | instskip(SKIP_1) | instid1(VALU_DEP_3)
	v_div_scale_f64 v[21:22], null, v[37:38], v[37:38], 1.0
	v_div_scale_f64 v[33:34], vcc_lo, 1.0, v[37:38], 1.0
	v_div_scale_f64 v[29:30], null, v[39:40], v[39:40], 1.0
	v_div_scale_f64 v[41:42], s0, 1.0, v[39:40], 1.0
	s_delay_alu instid0(VALU_DEP_4) | instskip(NEXT) | instid1(VALU_DEP_2)
	v_rcp_f64_e32 v[23:24], v[21:22]
	v_rcp_f64_e32 v[25:26], v[29:30]
	s_waitcnt_depctr 0xfff
	v_fma_f64 v[27:28], -v[21:22], v[23:24], 1.0
	v_fma_f64 v[31:32], -v[29:30], v[25:26], 1.0
	s_delay_alu instid0(VALU_DEP_2) | instskip(NEXT) | instid1(VALU_DEP_2)
	v_fma_f64 v[23:24], v[23:24], v[27:28], v[23:24]
	v_fma_f64 v[25:26], v[25:26], v[31:32], v[25:26]
	s_delay_alu instid0(VALU_DEP_2) | instskip(NEXT) | instid1(VALU_DEP_2)
	v_fma_f64 v[27:28], -v[21:22], v[23:24], 1.0
	v_fma_f64 v[31:32], -v[29:30], v[25:26], 1.0
	s_delay_alu instid0(VALU_DEP_2) | instskip(NEXT) | instid1(VALU_DEP_2)
	v_fma_f64 v[35:36], v[23:24], v[27:28], v[23:24]
	v_fma_f64 v[43:44], v[25:26], v[31:32], v[25:26]
	s_delay_alu instid0(VALU_DEP_2) | instskip(NEXT) | instid1(VALU_DEP_2)
	v_mul_f64 v[31:32], v[33:34], v[35:36]
	v_mul_f64 v[45:46], v[41:42], v[43:44]
	s_delay_alu instid0(VALU_DEP_2)
	v_fma_f64 v[33:34], -v[21:22], v[31:32], v[33:34]
	ds_load_b128 v[21:24], v3
	ds_load_b128 v[25:28], v3 offset:528
	v_fma_f64 v[41:42], -v[29:30], v[45:46], v[41:42]
	s_waitcnt lgkmcnt(1)
	v_mul_f64 v[47:48], v[7:8], -v[21:22]
	v_mul_f64 v[7:8], v[7:8], v[23:24]
	v_div_fmas_f64 v[49:50], v[33:34], v[35:36], v[31:32]
	ds_load_b128 v[29:32], v3 offset:1056
	ds_load_b128 v[33:36], v3 offset:2112
	s_mov_b32 vcc_lo, s0
	s_mov_b32 s0, exec_lo
	v_div_fmas_f64 v[41:42], v[41:42], v[43:44], v[45:46]
	s_waitcnt lgkmcnt(1)
	v_mul_f64 v[51:52], v[15:16], -v[29:30]
	v_fma_f64 v[23:24], v[23:24], v[5:6], v[47:48]
	v_mul_f64 v[15:16], v[15:16], v[31:32]
	v_fma_f64 v[21:22], v[21:22], v[5:6], v[7:8]
	ds_load_b128 v[5:8], v53 offset:1984
	v_div_fixup_f64 v[37:38], v[49:50], v[37:38], 1.0
	v_div_fixup_f64 v[39:40], v[41:42], v[39:40], 1.0
	v_fma_f64 v[31:32], v[31:32], v[13:14], v[51:52]
	v_fma_f64 v[43:44], v[29:30], v[13:14], v[15:16]
	s_delay_alu instid0(VALU_DEP_4)
	v_mul_f64 v[41:42], v[37:38], v[23:24]
	v_add_nc_u32_e32 v23, 0xffffff80, v53
	v_mul_f64 v[37:38], v[37:38], v[21:22]
	ds_load_b128 v[13:16], v23
	v_mul_f64 v[45:46], v[39:40], v[31:32]
	ds_load_b128 v[21:24], v55 offset:2240
	ds_load_b128 v[29:32], v55 offset:1184
	v_mul_f64 v[39:40], v[39:40], v[43:44]
	s_waitcnt vmcnt(0) lgkmcnt(0)
	s_waitcnt_vscnt null, 0x0
	; wave barrier
	s_waitcnt lgkmcnt(0)
	buffer_gl0_inv
	v_mul_f64 v[47:48], v[41:42], -v[11:12]
	v_mul_f64 v[49:50], v[41:42], v[9:10]
	v_mul_f64 v[51:52], v[41:42], -v[7:8]
	v_mul_f64 v[53:54], v[41:42], v[5:6]
	v_mul_f64 v[43:44], v[45:46], -v[19:20]
	v_mul_f64 v[55:56], v[45:46], v[17:18]
	v_mul_f64 v[57:58], v[45:46], -v[23:24]
	v_mul_f64 v[59:60], v[45:46], v[21:22]
	v_fma_f64 v[9:10], v[9:10], v[37:38], v[47:48]
	v_fma_f64 v[11:12], v[11:12], v[37:38], v[49:50]
	;; [unrolled: 1-line block ×4, first 2 shown]
	v_mul_f64 v[47:48], v[41:42], v[15:16]
	v_mul_f64 v[41:42], v[41:42], -v[13:14]
	v_mul_f64 v[49:50], v[45:46], v[31:32]
	v_fma_f64 v[17:18], v[17:18], v[39:40], v[43:44]
	v_fma_f64 v[19:20], v[19:20], v[39:40], v[55:56]
	;; [unrolled: 1-line block ×4, first 2 shown]
	v_add_f64 v[25:26], v[25:26], -v[9:10]
	v_add_f64 v[11:12], v[27:28], -v[11:12]
	;; [unrolled: 1-line block ×4, first 2 shown]
	v_mul_f64 v[35:36], v[45:46], -v[29:30]
	v_fma_f64 v[5:6], -v[13:14], v[37:38], v[47:48]
	v_fma_f64 v[7:8], -v[15:16], v[37:38], v[41:42]
	;; [unrolled: 1-line block ×3, first 2 shown]
	v_add_f64 v[13:14], v[25:26], -v[17:18]
	v_add_f64 v[15:16], v[11:12], -v[19:20]
	;; [unrolled: 1-line block ×4, first 2 shown]
	v_fma_f64 v[11:12], -v[31:32], v[39:40], v[35:36]
	ds_store_b128 v3, v[13:16] offset:528
	ds_store_b128 v3, v[5:8]
	ds_store_b128 v3, v[17:20] offset:2112
	ds_store_b128 v3, v[9:12] offset:1056
	s_waitcnt vmcnt(0) lgkmcnt(0)
	s_waitcnt_vscnt null, 0x0
	; wave barrier
	s_waitcnt lgkmcnt(0)
	buffer_gl0_inv
	v_cmpx_gt_u32_e32 16, v0
	s_cbranch_execz .LBB67_2
; %bb.1:
	v_add_nc_u32_e32 v0, 0x210, v3
	v_add_nc_u32_e32 v17, 0x420, v3
	ds_load_b128 v[5:8], v0
	ds_load_b128 v[9:12], v3 offset:256
	ds_load_b128 v[13:16], v0 offset:256
	ds_load_b128 v[17:20], v17
	s_waitcnt lgkmcnt(1)
	v_mul_f64 v[21:22], v[7:8], v[13:14]
	s_waitcnt lgkmcnt(0)
	v_mul_f64 v[23:24], v[11:12], v[17:18]
	v_mul_f64 v[25:26], v[7:8], -v[15:16]
	v_mul_f64 v[27:28], v[11:12], -v[19:20]
	s_delay_alu instid0(VALU_DEP_4) | instskip(NEXT) | instid1(VALU_DEP_4)
	v_fma_f64 v[21:22], v[15:16], v[5:6], v[21:22]
	v_fma_f64 v[23:24], v[19:20], v[9:10], v[23:24]
	s_delay_alu instid0(VALU_DEP_4) | instskip(NEXT) | instid1(VALU_DEP_4)
	v_fma_f64 v[25:26], v[13:14], v[5:6], v[25:26]
	v_fma_f64 v[27:28], v[17:18], v[9:10], v[27:28]
	s_delay_alu instid0(VALU_DEP_3) | instskip(NEXT) | instid1(VALU_DEP_2)
	v_add_f64 v[29:30], v[21:22], -v[23:24]
	v_add_f64 v[31:32], v[25:26], -v[27:28]
	s_delay_alu instid0(VALU_DEP_2) | instskip(NEXT) | instid1(VALU_DEP_1)
	v_mul_f64 v[21:22], v[29:30], v[29:30]
	v_fma_f64 v[33:34], v[31:32], v[31:32], v[21:22]
	s_delay_alu instid0(VALU_DEP_1) | instskip(SKIP_1) | instid1(VALU_DEP_2)
	v_div_scale_f64 v[21:22], null, v[33:34], v[33:34], 1.0
	v_div_scale_f64 v[27:28], vcc_lo, 1.0, v[33:34], 1.0
	v_rcp_f64_e32 v[23:24], v[21:22]
	s_waitcnt_depctr 0xfff
	v_fma_f64 v[25:26], -v[21:22], v[23:24], 1.0
	s_delay_alu instid0(VALU_DEP_1) | instskip(NEXT) | instid1(VALU_DEP_1)
	v_fma_f64 v[23:24], v[23:24], v[25:26], v[23:24]
	v_fma_f64 v[25:26], -v[21:22], v[23:24], 1.0
	s_delay_alu instid0(VALU_DEP_1) | instskip(NEXT) | instid1(VALU_DEP_1)
	v_fma_f64 v[35:36], v[23:24], v[25:26], v[23:24]
	v_mul_f64 v[37:38], v[27:28], v[35:36]
	s_delay_alu instid0(VALU_DEP_1)
	v_fma_f64 v[39:40], -v[21:22], v[37:38], v[27:28]
	ds_load_b128 v[21:24], v4
	ds_load_b128 v[25:28], v4 offset:256
	s_waitcnt lgkmcnt(1)
	v_mul_f64 v[41:42], v[23:24], -v[15:16]
	v_mul_f64 v[43:44], v[13:14], v[23:24]
	s_waitcnt lgkmcnt(0)
	v_mul_f64 v[45:46], v[27:28], -v[19:20]
	v_mul_f64 v[47:48], v[17:18], v[27:28]
	v_mul_f64 v[49:50], v[7:8], -v[27:28]
	v_mul_f64 v[7:8], v[7:8], v[25:26]
	v_div_fmas_f64 v[35:36], v[39:40], v[35:36], v[37:38]
	v_mul_f64 v[37:38], v[11:12], v[21:22]
	v_mul_f64 v[11:12], v[11:12], -v[23:24]
	v_fma_f64 v[39:40], v[31:32], 0, -v[29:30]
	v_fma_f64 v[13:14], v[13:14], v[21:22], v[41:42]
	v_fma_f64 v[15:16], v[15:16], v[21:22], v[43:44]
	;; [unrolled: 1-line block ×6, first 2 shown]
	v_div_fixup_f64 v[33:34], v[35:36], v[33:34], 1.0
	v_fma_f64 v[6:7], v[23:24], v[9:10], v[37:38]
	v_fma_f64 v[8:9], v[21:22], v[9:10], v[11:12]
	v_add_f64 v[12:13], v[13:14], -v[17:18]
	v_add_f64 v[10:11], v[15:16], -v[19:20]
	v_fma_f64 v[15:16], v[29:30], 0, v[31:32]
	v_mul_f64 v[19:20], v[39:40], v[33:34]
	v_add_f64 v[17:18], v[4:5], -v[6:7]
	v_add_f64 v[8:9], v[25:26], -v[8:9]
	s_delay_alu instid0(VALU_DEP_4) | instskip(NEXT) | instid1(VALU_DEP_4)
	v_mul_f64 v[14:15], v[15:16], v[33:34]
	v_mul_f64 v[4:5], v[19:20], -v[10:11]
	v_mul_f64 v[6:7], v[19:20], v[12:13]
	v_mul_f64 v[21:22], v[19:20], -v[17:18]
	v_mul_f64 v[19:20], v[19:20], v[8:9]
	s_delay_alu instid0(VALU_DEP_4) | instskip(NEXT) | instid1(VALU_DEP_4)
	v_fma_f64 v[4:5], v[12:13], v[14:15], v[4:5]
	v_fma_f64 v[6:7], v[10:11], v[14:15], v[6:7]
	s_delay_alu instid0(VALU_DEP_4) | instskip(NEXT) | instid1(VALU_DEP_4)
	v_fma_f64 v[8:9], v[8:9], v[14:15], v[21:22]
	v_fma_f64 v[10:11], v[17:18], v[14:15], v[19:20]
	ds_store_b128 v3, v[4:7] offset:1584
	ds_store_b128 v3, v[8:11] offset:1840
.LBB67_2:
	s_or_b32 exec_lo, exec_lo, s0
	s_waitcnt vmcnt(0) lgkmcnt(0)
	s_waitcnt_vscnt null, 0x0
	; wave barrier
	s_waitcnt lgkmcnt(0)
	buffer_gl0_inv
	ds_load_2addr_b64 v[3:6], v3 offset0:198 offset1:199
	s_waitcnt lgkmcnt(0)
	global_store_b128 v[1:2], v[3:6], off
	s_nop 0
	s_sendmsg sendmsg(MSG_DEALLOC_VGPRS)
	s_endpgm
	.section	.rodata,"a",@progbits
	.p2align	6, 0x0
	.amdhsa_kernel _ZN9rocsparseL49gtsv_nopivot_strided_batch_pcr_pow2_shared_kernelILj32E21rocsparse_complex_numIdEEEviiiPKT0_S5_S5_PS3_
		.amdhsa_group_segment_fixed_size 2640
		.amdhsa_private_segment_fixed_size 0
		.amdhsa_kernarg_size 48
		.amdhsa_user_sgpr_count 15
		.amdhsa_user_sgpr_dispatch_ptr 0
		.amdhsa_user_sgpr_queue_ptr 0
		.amdhsa_user_sgpr_kernarg_segment_ptr 1
		.amdhsa_user_sgpr_dispatch_id 0
		.amdhsa_user_sgpr_private_segment_size 0
		.amdhsa_wavefront_size32 1
		.amdhsa_uses_dynamic_stack 0
		.amdhsa_enable_private_segment 0
		.amdhsa_system_sgpr_workgroup_id_x 1
		.amdhsa_system_sgpr_workgroup_id_y 0
		.amdhsa_system_sgpr_workgroup_id_z 0
		.amdhsa_system_sgpr_workgroup_info 0
		.amdhsa_system_vgpr_workitem_id 0
		.amdhsa_next_free_vgpr 61
		.amdhsa_next_free_sgpr 16
		.amdhsa_reserve_vcc 1
		.amdhsa_float_round_mode_32 0
		.amdhsa_float_round_mode_16_64 0
		.amdhsa_float_denorm_mode_32 3
		.amdhsa_float_denorm_mode_16_64 3
		.amdhsa_dx10_clamp 1
		.amdhsa_ieee_mode 1
		.amdhsa_fp16_overflow 0
		.amdhsa_workgroup_processor_mode 1
		.amdhsa_memory_ordered 1
		.amdhsa_forward_progress 0
		.amdhsa_shared_vgpr_count 0
		.amdhsa_exception_fp_ieee_invalid_op 0
		.amdhsa_exception_fp_denorm_src 0
		.amdhsa_exception_fp_ieee_div_zero 0
		.amdhsa_exception_fp_ieee_overflow 0
		.amdhsa_exception_fp_ieee_underflow 0
		.amdhsa_exception_fp_ieee_inexact 0
		.amdhsa_exception_int_div_zero 0
	.end_amdhsa_kernel
	.section	.text._ZN9rocsparseL49gtsv_nopivot_strided_batch_pcr_pow2_shared_kernelILj32E21rocsparse_complex_numIdEEEviiiPKT0_S5_S5_PS3_,"axG",@progbits,_ZN9rocsparseL49gtsv_nopivot_strided_batch_pcr_pow2_shared_kernelILj32E21rocsparse_complex_numIdEEEviiiPKT0_S5_S5_PS3_,comdat
.Lfunc_end67:
	.size	_ZN9rocsparseL49gtsv_nopivot_strided_batch_pcr_pow2_shared_kernelILj32E21rocsparse_complex_numIdEEEviiiPKT0_S5_S5_PS3_, .Lfunc_end67-_ZN9rocsparseL49gtsv_nopivot_strided_batch_pcr_pow2_shared_kernelILj32E21rocsparse_complex_numIdEEEviiiPKT0_S5_S5_PS3_
                                        ; -- End function
	.section	.AMDGPU.csdata,"",@progbits
; Kernel info:
; codeLenInByte = 4088
; NumSgprs: 18
; NumVgprs: 61
; ScratchSize: 0
; MemoryBound: 0
; FloatMode: 240
; IeeeMode: 1
; LDSByteSize: 2640 bytes/workgroup (compile time only)
; SGPRBlocks: 2
; VGPRBlocks: 7
; NumSGPRsForWavesPerEU: 18
; NumVGPRsForWavesPerEU: 61
; Occupancy: 13
; WaveLimiterHint : 0
; COMPUTE_PGM_RSRC2:SCRATCH_EN: 0
; COMPUTE_PGM_RSRC2:USER_SGPR: 15
; COMPUTE_PGM_RSRC2:TRAP_HANDLER: 0
; COMPUTE_PGM_RSRC2:TGID_X_EN: 1
; COMPUTE_PGM_RSRC2:TGID_Y_EN: 0
; COMPUTE_PGM_RSRC2:TGID_Z_EN: 0
; COMPUTE_PGM_RSRC2:TIDIG_COMP_CNT: 0
	.section	.text._ZN9rocsparseL49gtsv_nopivot_strided_batch_pcr_pow2_shared_kernelILj64E21rocsparse_complex_numIdEEEviiiPKT0_S5_S5_PS3_,"axG",@progbits,_ZN9rocsparseL49gtsv_nopivot_strided_batch_pcr_pow2_shared_kernelILj64E21rocsparse_complex_numIdEEEviiiPKT0_S5_S5_PS3_,comdat
	.globl	_ZN9rocsparseL49gtsv_nopivot_strided_batch_pcr_pow2_shared_kernelILj64E21rocsparse_complex_numIdEEEviiiPKT0_S5_S5_PS3_ ; -- Begin function _ZN9rocsparseL49gtsv_nopivot_strided_batch_pcr_pow2_shared_kernelILj64E21rocsparse_complex_numIdEEEviiiPKT0_S5_S5_PS3_
	.p2align	8
	.type	_ZN9rocsparseL49gtsv_nopivot_strided_batch_pcr_pow2_shared_kernelILj64E21rocsparse_complex_numIdEEEviiiPKT0_S5_S5_PS3_,@function
_ZN9rocsparseL49gtsv_nopivot_strided_batch_pcr_pow2_shared_kernelILj64E21rocsparse_complex_numIdEEEviiiPKT0_S5_S5_PS3_: ; @_ZN9rocsparseL49gtsv_nopivot_strided_batch_pcr_pow2_shared_kernelILj64E21rocsparse_complex_numIdEEEviiiPKT0_S5_S5_PS3_
; %bb.0:
	s_clause 0x1
	s_load_b32 s8, s[0:1], 0x8
	s_load_b256 s[0:7], s[0:1], 0x10
	v_max_u32_e32 v22, 1, v0
	s_delay_alu instid0(VALU_DEP_1) | instskip(SKIP_2) | instid1(VALU_DEP_1)
	v_lshlrev_b32_e32 v54, 4, v22
	s_waitcnt lgkmcnt(0)
	v_mad_u64_u32 v[1:2], null, s15, s8, v[0:1]
	v_ashrrev_i32_e32 v2, 31, v1
	s_delay_alu instid0(VALU_DEP_1) | instskip(NEXT) | instid1(VALU_DEP_1)
	v_lshlrev_b64 v[1:2], 4, v[1:2]
	v_add_co_u32 v3, vcc_lo, s0, v1
	s_delay_alu instid0(VALU_DEP_2)
	v_add_co_ci_u32_e32 v4, vcc_lo, s1, v2, vcc_lo
	v_add_co_u32 v10, vcc_lo, s2, v1
	v_add_co_ci_u32_e32 v11, vcc_lo, s3, v2, vcc_lo
	v_add_co_u32 v14, vcc_lo, s4, v1
	;; [unrolled: 2-line block ×3, first 2 shown]
	v_add_co_ci_u32_e32 v2, vcc_lo, s7, v2, vcc_lo
	global_load_b128 v[6:9], v[3:4], off
	global_load_b128 v[10:13], v[10:11], off
	;; [unrolled: 1-line block ×4, first 2 shown]
	v_lshlrev_b32_e32 v3, 4, v0
	s_delay_alu instid0(VALU_DEP_1)
	v_add_nc_u32_e32 v5, 0x820, v3
	v_add_nc_u32_e32 v4, 0x1040, v3
	s_waitcnt vmcnt(3)
	ds_store_2addr_b64 v3, v[6:7], v[8:9] offset1:1
	s_waitcnt vmcnt(2)
	ds_store_2addr_b64 v3, v[10:11], v[12:13] offset0:130 offset1:131
	s_waitcnt vmcnt(1)
	ds_store_2addr_b64 v5, v[14:15], v[16:17] offset1:1
	s_waitcnt vmcnt(0)
	ds_store_2addr_b64 v4, v[18:19], v[20:21] offset1:1
	s_waitcnt lgkmcnt(0)
	s_barrier
	buffer_gl0_inv
	ds_load_b128 v[6:9], v54 offset:1024
	ds_load_b128 v[10:13], v54 offset:2064
	v_min_u32_e32 v14, 62, v0
	s_delay_alu instid0(VALU_DEP_1)
	v_lshlrev_b32_e32 v56, 4, v14
	ds_load_b128 v[14:17], v56 offset:1056
	ds_load_b128 v[18:21], v56 offset:16
	s_waitcnt lgkmcnt(3)
	v_mul_f64 v[22:23], v[8:9], v[8:9]
	s_waitcnt lgkmcnt(1)
	v_mul_f64 v[24:25], v[16:17], v[16:17]
	s_delay_alu instid0(VALU_DEP_2) | instskip(NEXT) | instid1(VALU_DEP_2)
	v_fma_f64 v[38:39], v[6:7], v[6:7], v[22:23]
	v_fma_f64 v[40:41], v[14:15], v[14:15], v[24:25]
	s_delay_alu instid0(VALU_DEP_2) | instskip(SKIP_1) | instid1(VALU_DEP_3)
	v_div_scale_f64 v[22:23], null, v[38:39], v[38:39], 1.0
	v_div_scale_f64 v[34:35], vcc_lo, 1.0, v[38:39], 1.0
	v_div_scale_f64 v[30:31], null, v[40:41], v[40:41], 1.0
	v_div_scale_f64 v[42:43], s0, 1.0, v[40:41], 1.0
	s_delay_alu instid0(VALU_DEP_4) | instskip(NEXT) | instid1(VALU_DEP_2)
	v_rcp_f64_e32 v[24:25], v[22:23]
	v_rcp_f64_e32 v[26:27], v[30:31]
	s_waitcnt_depctr 0xfff
	v_fma_f64 v[28:29], -v[22:23], v[24:25], 1.0
	v_fma_f64 v[32:33], -v[30:31], v[26:27], 1.0
	s_delay_alu instid0(VALU_DEP_2) | instskip(NEXT) | instid1(VALU_DEP_2)
	v_fma_f64 v[24:25], v[24:25], v[28:29], v[24:25]
	v_fma_f64 v[26:27], v[26:27], v[32:33], v[26:27]
	s_delay_alu instid0(VALU_DEP_2) | instskip(NEXT) | instid1(VALU_DEP_2)
	v_fma_f64 v[28:29], -v[22:23], v[24:25], 1.0
	v_fma_f64 v[32:33], -v[30:31], v[26:27], 1.0
	s_delay_alu instid0(VALU_DEP_2) | instskip(NEXT) | instid1(VALU_DEP_2)
	v_fma_f64 v[36:37], v[24:25], v[28:29], v[24:25]
	v_fma_f64 v[44:45], v[26:27], v[32:33], v[26:27]
	s_delay_alu instid0(VALU_DEP_2) | instskip(NEXT) | instid1(VALU_DEP_2)
	v_mul_f64 v[32:33], v[34:35], v[36:37]
	v_mul_f64 v[46:47], v[42:43], v[44:45]
	s_delay_alu instid0(VALU_DEP_2)
	v_fma_f64 v[34:35], -v[22:23], v[32:33], v[34:35]
	ds_load_b128 v[22:25], v3
	ds_load_b128 v[26:29], v3 offset:1040
	v_fma_f64 v[42:43], -v[30:31], v[46:47], v[42:43]
	s_waitcnt lgkmcnt(1)
	v_mul_f64 v[48:49], v[8:9], -v[22:23]
	v_mul_f64 v[8:9], v[8:9], v[24:25]
	v_div_fmas_f64 v[50:51], v[34:35], v[36:37], v[32:33]
	ds_load_b128 v[30:33], v3 offset:2080
	ds_load_b128 v[34:37], v3 offset:4160
	s_mov_b32 vcc_lo, s0
	v_div_fmas_f64 v[42:43], v[42:43], v[44:45], v[46:47]
	s_waitcnt lgkmcnt(1)
	v_mul_f64 v[52:53], v[16:17], -v[30:31]
	v_fma_f64 v[24:25], v[24:25], v[6:7], v[48:49]
	v_mul_f64 v[16:17], v[16:17], v[32:33]
	v_fma_f64 v[22:23], v[22:23], v[6:7], v[8:9]
	ds_load_b128 v[6:9], v54 offset:4144
	v_div_fixup_f64 v[38:39], v[50:51], v[38:39], 1.0
	v_div_fixup_f64 v[40:41], v[42:43], v[40:41], 1.0
	v_fma_f64 v[32:33], v[32:33], v[14:15], v[52:53]
	v_fma_f64 v[44:45], v[30:31], v[14:15], v[16:17]
	s_delay_alu instid0(VALU_DEP_4)
	v_mul_f64 v[42:43], v[38:39], v[24:25]
	v_add_nc_u32_e32 v24, -16, v54
	v_mul_f64 v[38:39], v[38:39], v[22:23]
	ds_load_b128 v[14:17], v24
	v_mul_f64 v[46:47], v[40:41], v[32:33]
	ds_load_b128 v[22:25], v56 offset:4176
	ds_load_b128 v[30:33], v56 offset:2096
	v_mul_f64 v[40:41], v[40:41], v[44:45]
	s_waitcnt lgkmcnt(0)
	s_barrier
	buffer_gl0_inv
	v_mul_f64 v[48:49], v[42:43], -v[12:13]
	v_mul_f64 v[50:51], v[42:43], v[10:11]
	v_mul_f64 v[52:53], v[42:43], -v[8:9]
	v_mul_f64 v[54:55], v[42:43], v[6:7]
	;; [unrolled: 2-line block ×4, first 2 shown]
	v_fma_f64 v[10:11], v[10:11], v[38:39], v[48:49]
	v_fma_f64 v[12:13], v[12:13], v[38:39], v[50:51]
	;; [unrolled: 1-line block ×4, first 2 shown]
	v_mul_f64 v[48:49], v[42:43], v[16:17]
	v_mul_f64 v[42:43], v[42:43], -v[14:15]
	v_mul_f64 v[50:51], v[46:47], v[32:33]
	v_fma_f64 v[18:19], v[18:19], v[40:41], v[44:45]
	v_fma_f64 v[20:21], v[20:21], v[40:41], v[56:57]
	;; [unrolled: 1-line block ×4, first 2 shown]
	v_add_f64 v[26:27], v[26:27], -v[10:11]
	v_add_f64 v[12:13], v[28:29], -v[12:13]
	;; [unrolled: 1-line block ×4, first 2 shown]
	v_mul_f64 v[36:37], v[46:47], -v[30:31]
	v_fma_f64 v[6:7], -v[14:15], v[38:39], v[48:49]
	v_fma_f64 v[8:9], -v[16:17], v[38:39], v[42:43]
	;; [unrolled: 1-line block ×3, first 2 shown]
	v_add_f64 v[14:15], v[26:27], -v[18:19]
	v_add_f64 v[16:17], v[12:13], -v[20:21]
	;; [unrolled: 1-line block ×4, first 2 shown]
	v_fma_f64 v[12:13], -v[32:33], v[40:41], v[36:37]
	v_max_u32_e32 v22, 2, v0
	ds_store_b128 v3, v[14:17] offset:1040
	ds_store_b128 v3, v[6:9]
	ds_store_b128 v3, v[18:21] offset:4160
	ds_store_b128 v3, v[10:13] offset:2080
	v_lshlrev_b32_e32 v54, 4, v22
	s_waitcnt lgkmcnt(0)
	s_barrier
	buffer_gl0_inv
	ds_load_b128 v[6:9], v54 offset:1008
	ds_load_b128 v[10:13], v54 offset:2048
	v_min_u32_e32 v14, 61, v0
	s_delay_alu instid0(VALU_DEP_1)
	v_lshlrev_b32_e32 v56, 4, v14
	ds_load_b128 v[14:17], v56 offset:1072
	ds_load_b128 v[18:21], v56 offset:32
	s_waitcnt lgkmcnt(3)
	v_mul_f64 v[22:23], v[8:9], v[8:9]
	s_waitcnt lgkmcnt(1)
	v_mul_f64 v[24:25], v[16:17], v[16:17]
	s_delay_alu instid0(VALU_DEP_2) | instskip(NEXT) | instid1(VALU_DEP_2)
	v_fma_f64 v[38:39], v[6:7], v[6:7], v[22:23]
	v_fma_f64 v[40:41], v[14:15], v[14:15], v[24:25]
	s_delay_alu instid0(VALU_DEP_2) | instskip(SKIP_1) | instid1(VALU_DEP_3)
	v_div_scale_f64 v[22:23], null, v[38:39], v[38:39], 1.0
	v_div_scale_f64 v[34:35], vcc_lo, 1.0, v[38:39], 1.0
	v_div_scale_f64 v[30:31], null, v[40:41], v[40:41], 1.0
	v_div_scale_f64 v[42:43], s0, 1.0, v[40:41], 1.0
	s_delay_alu instid0(VALU_DEP_4) | instskip(NEXT) | instid1(VALU_DEP_2)
	v_rcp_f64_e32 v[24:25], v[22:23]
	v_rcp_f64_e32 v[26:27], v[30:31]
	s_waitcnt_depctr 0xfff
	v_fma_f64 v[28:29], -v[22:23], v[24:25], 1.0
	v_fma_f64 v[32:33], -v[30:31], v[26:27], 1.0
	s_delay_alu instid0(VALU_DEP_2) | instskip(NEXT) | instid1(VALU_DEP_2)
	v_fma_f64 v[24:25], v[24:25], v[28:29], v[24:25]
	v_fma_f64 v[26:27], v[26:27], v[32:33], v[26:27]
	s_delay_alu instid0(VALU_DEP_2) | instskip(NEXT) | instid1(VALU_DEP_2)
	v_fma_f64 v[28:29], -v[22:23], v[24:25], 1.0
	v_fma_f64 v[32:33], -v[30:31], v[26:27], 1.0
	s_delay_alu instid0(VALU_DEP_2) | instskip(NEXT) | instid1(VALU_DEP_2)
	v_fma_f64 v[36:37], v[24:25], v[28:29], v[24:25]
	v_fma_f64 v[44:45], v[26:27], v[32:33], v[26:27]
	s_delay_alu instid0(VALU_DEP_2) | instskip(NEXT) | instid1(VALU_DEP_2)
	v_mul_f64 v[32:33], v[34:35], v[36:37]
	v_mul_f64 v[46:47], v[42:43], v[44:45]
	s_delay_alu instid0(VALU_DEP_2)
	v_fma_f64 v[34:35], -v[22:23], v[32:33], v[34:35]
	ds_load_b128 v[22:25], v3
	ds_load_b128 v[26:29], v3 offset:1040
	v_fma_f64 v[42:43], -v[30:31], v[46:47], v[42:43]
	s_waitcnt lgkmcnt(1)
	v_mul_f64 v[48:49], v[8:9], -v[22:23]
	v_mul_f64 v[8:9], v[8:9], v[24:25]
	v_div_fmas_f64 v[50:51], v[34:35], v[36:37], v[32:33]
	ds_load_b128 v[30:33], v3 offset:2080
	ds_load_b128 v[34:37], v3 offset:4160
	s_mov_b32 vcc_lo, s0
	v_div_fmas_f64 v[42:43], v[42:43], v[44:45], v[46:47]
	s_waitcnt lgkmcnt(1)
	v_mul_f64 v[52:53], v[16:17], -v[30:31]
	v_fma_f64 v[24:25], v[24:25], v[6:7], v[48:49]
	v_mul_f64 v[16:17], v[16:17], v[32:33]
	v_fma_f64 v[22:23], v[22:23], v[6:7], v[8:9]
	ds_load_b128 v[6:9], v54 offset:4128
	v_div_fixup_f64 v[38:39], v[50:51], v[38:39], 1.0
	v_div_fixup_f64 v[40:41], v[42:43], v[40:41], 1.0
	v_fma_f64 v[32:33], v[32:33], v[14:15], v[52:53]
	v_fma_f64 v[44:45], v[30:31], v[14:15], v[16:17]
	s_delay_alu instid0(VALU_DEP_4)
	v_mul_f64 v[42:43], v[38:39], v[24:25]
	v_subrev_nc_u32_e32 v24, 32, v54
	v_mul_f64 v[38:39], v[38:39], v[22:23]
	ds_load_b128 v[14:17], v24
	v_mul_f64 v[46:47], v[40:41], v[32:33]
	ds_load_b128 v[22:25], v56 offset:4192
	ds_load_b128 v[30:33], v56 offset:2112
	v_mul_f64 v[40:41], v[40:41], v[44:45]
	s_waitcnt lgkmcnt(0)
	s_barrier
	buffer_gl0_inv
	v_mul_f64 v[48:49], v[42:43], -v[12:13]
	v_mul_f64 v[50:51], v[42:43], v[10:11]
	v_mul_f64 v[52:53], v[42:43], -v[8:9]
	v_mul_f64 v[54:55], v[42:43], v[6:7]
	;; [unrolled: 2-line block ×4, first 2 shown]
	v_fma_f64 v[10:11], v[10:11], v[38:39], v[48:49]
	v_fma_f64 v[12:13], v[12:13], v[38:39], v[50:51]
	;; [unrolled: 1-line block ×4, first 2 shown]
	v_mul_f64 v[48:49], v[42:43], v[16:17]
	v_mul_f64 v[42:43], v[42:43], -v[14:15]
	v_mul_f64 v[50:51], v[46:47], v[32:33]
	v_fma_f64 v[18:19], v[18:19], v[40:41], v[44:45]
	v_fma_f64 v[20:21], v[20:21], v[40:41], v[56:57]
	;; [unrolled: 1-line block ×4, first 2 shown]
	v_add_f64 v[26:27], v[26:27], -v[10:11]
	v_add_f64 v[12:13], v[28:29], -v[12:13]
	v_add_f64 v[28:29], v[34:35], -v[6:7]
	v_add_f64 v[34:35], v[36:37], -v[8:9]
	v_mul_f64 v[36:37], v[46:47], -v[30:31]
	v_fma_f64 v[6:7], -v[14:15], v[38:39], v[48:49]
	v_fma_f64 v[8:9], -v[16:17], v[38:39], v[42:43]
	;; [unrolled: 1-line block ×3, first 2 shown]
	v_add_f64 v[14:15], v[26:27], -v[18:19]
	v_add_f64 v[16:17], v[12:13], -v[20:21]
	;; [unrolled: 1-line block ×4, first 2 shown]
	v_fma_f64 v[12:13], -v[32:33], v[40:41], v[36:37]
	v_max_u32_e32 v22, 4, v0
	ds_store_b128 v3, v[14:17] offset:1040
	ds_store_b128 v3, v[6:9]
	ds_store_b128 v3, v[18:21] offset:4160
	ds_store_b128 v3, v[10:13] offset:2080
	v_lshlrev_b32_e32 v54, 4, v22
	s_waitcnt lgkmcnt(0)
	s_barrier
	buffer_gl0_inv
	ds_load_b128 v[6:9], v54 offset:976
	ds_load_b128 v[10:13], v54 offset:2016
	v_min_u32_e32 v14, 59, v0
	s_delay_alu instid0(VALU_DEP_1)
	v_lshlrev_b32_e32 v56, 4, v14
	ds_load_b128 v[14:17], v56 offset:1104
	ds_load_b128 v[18:21], v56 offset:64
	s_waitcnt lgkmcnt(3)
	v_mul_f64 v[22:23], v[8:9], v[8:9]
	s_waitcnt lgkmcnt(1)
	v_mul_f64 v[24:25], v[16:17], v[16:17]
	s_delay_alu instid0(VALU_DEP_2) | instskip(NEXT) | instid1(VALU_DEP_2)
	v_fma_f64 v[38:39], v[6:7], v[6:7], v[22:23]
	v_fma_f64 v[40:41], v[14:15], v[14:15], v[24:25]
	s_delay_alu instid0(VALU_DEP_2) | instskip(SKIP_1) | instid1(VALU_DEP_3)
	v_div_scale_f64 v[22:23], null, v[38:39], v[38:39], 1.0
	v_div_scale_f64 v[34:35], vcc_lo, 1.0, v[38:39], 1.0
	v_div_scale_f64 v[30:31], null, v[40:41], v[40:41], 1.0
	v_div_scale_f64 v[42:43], s0, 1.0, v[40:41], 1.0
	s_delay_alu instid0(VALU_DEP_4) | instskip(NEXT) | instid1(VALU_DEP_2)
	v_rcp_f64_e32 v[24:25], v[22:23]
	v_rcp_f64_e32 v[26:27], v[30:31]
	s_waitcnt_depctr 0xfff
	v_fma_f64 v[28:29], -v[22:23], v[24:25], 1.0
	v_fma_f64 v[32:33], -v[30:31], v[26:27], 1.0
	s_delay_alu instid0(VALU_DEP_2) | instskip(NEXT) | instid1(VALU_DEP_2)
	v_fma_f64 v[24:25], v[24:25], v[28:29], v[24:25]
	v_fma_f64 v[26:27], v[26:27], v[32:33], v[26:27]
	s_delay_alu instid0(VALU_DEP_2) | instskip(NEXT) | instid1(VALU_DEP_2)
	v_fma_f64 v[28:29], -v[22:23], v[24:25], 1.0
	v_fma_f64 v[32:33], -v[30:31], v[26:27], 1.0
	s_delay_alu instid0(VALU_DEP_2) | instskip(NEXT) | instid1(VALU_DEP_2)
	v_fma_f64 v[36:37], v[24:25], v[28:29], v[24:25]
	v_fma_f64 v[44:45], v[26:27], v[32:33], v[26:27]
	s_delay_alu instid0(VALU_DEP_2) | instskip(NEXT) | instid1(VALU_DEP_2)
	v_mul_f64 v[32:33], v[34:35], v[36:37]
	v_mul_f64 v[46:47], v[42:43], v[44:45]
	s_delay_alu instid0(VALU_DEP_2)
	v_fma_f64 v[34:35], -v[22:23], v[32:33], v[34:35]
	ds_load_b128 v[22:25], v3
	ds_load_b128 v[26:29], v3 offset:1040
	v_fma_f64 v[42:43], -v[30:31], v[46:47], v[42:43]
	s_waitcnt lgkmcnt(1)
	v_mul_f64 v[48:49], v[8:9], -v[22:23]
	v_mul_f64 v[8:9], v[8:9], v[24:25]
	v_div_fmas_f64 v[50:51], v[34:35], v[36:37], v[32:33]
	ds_load_b128 v[30:33], v3 offset:2080
	ds_load_b128 v[34:37], v3 offset:4160
	s_mov_b32 vcc_lo, s0
	v_div_fmas_f64 v[42:43], v[42:43], v[44:45], v[46:47]
	s_waitcnt lgkmcnt(1)
	v_mul_f64 v[52:53], v[16:17], -v[30:31]
	v_fma_f64 v[24:25], v[24:25], v[6:7], v[48:49]
	v_mul_f64 v[16:17], v[16:17], v[32:33]
	v_fma_f64 v[22:23], v[22:23], v[6:7], v[8:9]
	ds_load_b128 v[6:9], v54 offset:4096
	v_div_fixup_f64 v[38:39], v[50:51], v[38:39], 1.0
	v_div_fixup_f64 v[40:41], v[42:43], v[40:41], 1.0
	v_fma_f64 v[32:33], v[32:33], v[14:15], v[52:53]
	v_fma_f64 v[44:45], v[30:31], v[14:15], v[16:17]
	s_delay_alu instid0(VALU_DEP_4)
	v_mul_f64 v[42:43], v[38:39], v[24:25]
	v_subrev_nc_u32_e32 v24, 64, v54
	v_mul_f64 v[38:39], v[38:39], v[22:23]
	ds_load_b128 v[14:17], v24
	v_mul_f64 v[46:47], v[40:41], v[32:33]
	ds_load_b128 v[22:25], v56 offset:4224
	ds_load_b128 v[30:33], v56 offset:2144
	v_mul_f64 v[40:41], v[40:41], v[44:45]
	s_waitcnt lgkmcnt(0)
	s_barrier
	buffer_gl0_inv
	v_mul_f64 v[48:49], v[42:43], -v[12:13]
	v_mul_f64 v[50:51], v[42:43], v[10:11]
	v_mul_f64 v[52:53], v[42:43], -v[8:9]
	v_mul_f64 v[54:55], v[42:43], v[6:7]
	;; [unrolled: 2-line block ×4, first 2 shown]
	v_fma_f64 v[10:11], v[10:11], v[38:39], v[48:49]
	v_fma_f64 v[12:13], v[12:13], v[38:39], v[50:51]
	;; [unrolled: 1-line block ×4, first 2 shown]
	v_mul_f64 v[48:49], v[42:43], v[16:17]
	v_mul_f64 v[42:43], v[42:43], -v[14:15]
	v_mul_f64 v[50:51], v[46:47], v[32:33]
	v_fma_f64 v[18:19], v[18:19], v[40:41], v[44:45]
	v_fma_f64 v[20:21], v[20:21], v[40:41], v[56:57]
	;; [unrolled: 1-line block ×4, first 2 shown]
	v_add_f64 v[26:27], v[26:27], -v[10:11]
	v_add_f64 v[12:13], v[28:29], -v[12:13]
	;; [unrolled: 1-line block ×4, first 2 shown]
	v_mul_f64 v[36:37], v[46:47], -v[30:31]
	v_fma_f64 v[6:7], -v[14:15], v[38:39], v[48:49]
	v_fma_f64 v[8:9], -v[16:17], v[38:39], v[42:43]
	;; [unrolled: 1-line block ×3, first 2 shown]
	v_add_f64 v[14:15], v[26:27], -v[18:19]
	v_add_f64 v[16:17], v[12:13], -v[20:21]
	;; [unrolled: 1-line block ×4, first 2 shown]
	v_fma_f64 v[12:13], -v[32:33], v[40:41], v[36:37]
	v_max_u32_e32 v22, 8, v0
	ds_store_b128 v3, v[14:17] offset:1040
	ds_store_b128 v3, v[6:9]
	ds_store_b128 v3, v[18:21] offset:4160
	ds_store_b128 v3, v[10:13] offset:2080
	v_lshlrev_b32_e32 v54, 4, v22
	s_waitcnt lgkmcnt(0)
	s_barrier
	buffer_gl0_inv
	ds_load_b128 v[6:9], v54 offset:912
	ds_load_b128 v[10:13], v54 offset:1952
	v_min_u32_e32 v14, 55, v0
	s_delay_alu instid0(VALU_DEP_1)
	v_lshlrev_b32_e32 v56, 4, v14
	ds_load_b128 v[14:17], v56 offset:1168
	ds_load_b128 v[18:21], v56 offset:128
	s_waitcnt lgkmcnt(3)
	v_mul_f64 v[22:23], v[8:9], v[8:9]
	s_waitcnt lgkmcnt(1)
	v_mul_f64 v[24:25], v[16:17], v[16:17]
	s_delay_alu instid0(VALU_DEP_2) | instskip(NEXT) | instid1(VALU_DEP_2)
	v_fma_f64 v[38:39], v[6:7], v[6:7], v[22:23]
	v_fma_f64 v[40:41], v[14:15], v[14:15], v[24:25]
	s_delay_alu instid0(VALU_DEP_2) | instskip(SKIP_1) | instid1(VALU_DEP_3)
	v_div_scale_f64 v[22:23], null, v[38:39], v[38:39], 1.0
	v_div_scale_f64 v[34:35], vcc_lo, 1.0, v[38:39], 1.0
	v_div_scale_f64 v[30:31], null, v[40:41], v[40:41], 1.0
	v_div_scale_f64 v[42:43], s0, 1.0, v[40:41], 1.0
	s_delay_alu instid0(VALU_DEP_4) | instskip(NEXT) | instid1(VALU_DEP_2)
	v_rcp_f64_e32 v[24:25], v[22:23]
	v_rcp_f64_e32 v[26:27], v[30:31]
	s_waitcnt_depctr 0xfff
	v_fma_f64 v[28:29], -v[22:23], v[24:25], 1.0
	v_fma_f64 v[32:33], -v[30:31], v[26:27], 1.0
	s_delay_alu instid0(VALU_DEP_2) | instskip(NEXT) | instid1(VALU_DEP_2)
	v_fma_f64 v[24:25], v[24:25], v[28:29], v[24:25]
	v_fma_f64 v[26:27], v[26:27], v[32:33], v[26:27]
	s_delay_alu instid0(VALU_DEP_2) | instskip(NEXT) | instid1(VALU_DEP_2)
	v_fma_f64 v[28:29], -v[22:23], v[24:25], 1.0
	v_fma_f64 v[32:33], -v[30:31], v[26:27], 1.0
	s_delay_alu instid0(VALU_DEP_2) | instskip(NEXT) | instid1(VALU_DEP_2)
	v_fma_f64 v[36:37], v[24:25], v[28:29], v[24:25]
	v_fma_f64 v[44:45], v[26:27], v[32:33], v[26:27]
	s_delay_alu instid0(VALU_DEP_2) | instskip(NEXT) | instid1(VALU_DEP_2)
	v_mul_f64 v[32:33], v[34:35], v[36:37]
	v_mul_f64 v[46:47], v[42:43], v[44:45]
	s_delay_alu instid0(VALU_DEP_2)
	v_fma_f64 v[34:35], -v[22:23], v[32:33], v[34:35]
	ds_load_b128 v[22:25], v3
	ds_load_b128 v[26:29], v3 offset:1040
	v_fma_f64 v[42:43], -v[30:31], v[46:47], v[42:43]
	s_waitcnt lgkmcnt(1)
	v_mul_f64 v[48:49], v[8:9], -v[22:23]
	v_mul_f64 v[8:9], v[8:9], v[24:25]
	v_div_fmas_f64 v[50:51], v[34:35], v[36:37], v[32:33]
	ds_load_b128 v[30:33], v3 offset:2080
	ds_load_b128 v[34:37], v3 offset:4160
	s_mov_b32 vcc_lo, s0
	v_div_fmas_f64 v[42:43], v[42:43], v[44:45], v[46:47]
	s_waitcnt lgkmcnt(1)
	v_mul_f64 v[52:53], v[16:17], -v[30:31]
	v_fma_f64 v[24:25], v[24:25], v[6:7], v[48:49]
	v_mul_f64 v[16:17], v[16:17], v[32:33]
	v_fma_f64 v[22:23], v[22:23], v[6:7], v[8:9]
	ds_load_b128 v[6:9], v54 offset:4032
	v_div_fixup_f64 v[38:39], v[50:51], v[38:39], 1.0
	v_div_fixup_f64 v[40:41], v[42:43], v[40:41], 1.0
	v_fma_f64 v[32:33], v[32:33], v[14:15], v[52:53]
	v_fma_f64 v[44:45], v[30:31], v[14:15], v[16:17]
	s_delay_alu instid0(VALU_DEP_4)
	v_mul_f64 v[42:43], v[38:39], v[24:25]
	v_add_nc_u32_e32 v24, 0xffffff80, v54
	v_mul_f64 v[38:39], v[38:39], v[22:23]
	ds_load_b128 v[14:17], v24
	v_mul_f64 v[46:47], v[40:41], v[32:33]
	ds_load_b128 v[22:25], v56 offset:4288
	ds_load_b128 v[30:33], v56 offset:2208
	v_mul_f64 v[40:41], v[40:41], v[44:45]
	s_waitcnt lgkmcnt(0)
	s_barrier
	buffer_gl0_inv
	v_mul_f64 v[48:49], v[42:43], -v[12:13]
	v_mul_f64 v[50:51], v[42:43], v[10:11]
	v_mul_f64 v[52:53], v[42:43], -v[8:9]
	v_mul_f64 v[54:55], v[42:43], v[6:7]
	;; [unrolled: 2-line block ×4, first 2 shown]
	v_fma_f64 v[10:11], v[10:11], v[38:39], v[48:49]
	v_fma_f64 v[12:13], v[12:13], v[38:39], v[50:51]
	;; [unrolled: 1-line block ×4, first 2 shown]
	v_mul_f64 v[48:49], v[42:43], v[16:17]
	v_mul_f64 v[42:43], v[42:43], -v[14:15]
	v_mul_f64 v[50:51], v[46:47], v[32:33]
	v_fma_f64 v[18:19], v[18:19], v[40:41], v[44:45]
	v_fma_f64 v[20:21], v[20:21], v[40:41], v[56:57]
	;; [unrolled: 1-line block ×4, first 2 shown]
	v_add_f64 v[26:27], v[26:27], -v[10:11]
	v_add_f64 v[12:13], v[28:29], -v[12:13]
	;; [unrolled: 1-line block ×4, first 2 shown]
	v_mul_f64 v[36:37], v[46:47], -v[30:31]
	v_fma_f64 v[6:7], -v[14:15], v[38:39], v[48:49]
	v_fma_f64 v[8:9], -v[16:17], v[38:39], v[42:43]
	;; [unrolled: 1-line block ×3, first 2 shown]
	v_add_f64 v[14:15], v[26:27], -v[18:19]
	v_add_f64 v[16:17], v[12:13], -v[20:21]
	;; [unrolled: 1-line block ×4, first 2 shown]
	v_fma_f64 v[12:13], -v[32:33], v[40:41], v[36:37]
	v_max_u32_e32 v22, 16, v0
	ds_store_b128 v3, v[14:17] offset:1040
	ds_store_b128 v3, v[6:9]
	ds_store_b128 v3, v[18:21] offset:4160
	ds_store_b128 v3, v[10:13] offset:2080
	v_lshlrev_b32_e32 v54, 4, v22
	s_waitcnt lgkmcnt(0)
	s_barrier
	buffer_gl0_inv
	ds_load_b128 v[6:9], v54 offset:784
	ds_load_b128 v[10:13], v54 offset:1824
	v_min_u32_e32 v14, 47, v0
	s_delay_alu instid0(VALU_DEP_1)
	v_lshlrev_b32_e32 v56, 4, v14
	ds_load_b128 v[14:17], v56 offset:1296
	ds_load_b128 v[18:21], v56 offset:256
	s_waitcnt lgkmcnt(3)
	v_mul_f64 v[22:23], v[8:9], v[8:9]
	s_waitcnt lgkmcnt(1)
	v_mul_f64 v[24:25], v[16:17], v[16:17]
	s_delay_alu instid0(VALU_DEP_2) | instskip(NEXT) | instid1(VALU_DEP_2)
	v_fma_f64 v[38:39], v[6:7], v[6:7], v[22:23]
	v_fma_f64 v[40:41], v[14:15], v[14:15], v[24:25]
	s_delay_alu instid0(VALU_DEP_2) | instskip(SKIP_1) | instid1(VALU_DEP_3)
	v_div_scale_f64 v[22:23], null, v[38:39], v[38:39], 1.0
	v_div_scale_f64 v[34:35], vcc_lo, 1.0, v[38:39], 1.0
	v_div_scale_f64 v[30:31], null, v[40:41], v[40:41], 1.0
	v_div_scale_f64 v[42:43], s0, 1.0, v[40:41], 1.0
	s_delay_alu instid0(VALU_DEP_4) | instskip(NEXT) | instid1(VALU_DEP_2)
	v_rcp_f64_e32 v[24:25], v[22:23]
	v_rcp_f64_e32 v[26:27], v[30:31]
	s_waitcnt_depctr 0xfff
	v_fma_f64 v[28:29], -v[22:23], v[24:25], 1.0
	v_fma_f64 v[32:33], -v[30:31], v[26:27], 1.0
	s_delay_alu instid0(VALU_DEP_2) | instskip(NEXT) | instid1(VALU_DEP_2)
	v_fma_f64 v[24:25], v[24:25], v[28:29], v[24:25]
	v_fma_f64 v[26:27], v[26:27], v[32:33], v[26:27]
	s_delay_alu instid0(VALU_DEP_2) | instskip(NEXT) | instid1(VALU_DEP_2)
	v_fma_f64 v[28:29], -v[22:23], v[24:25], 1.0
	v_fma_f64 v[32:33], -v[30:31], v[26:27], 1.0
	s_delay_alu instid0(VALU_DEP_2) | instskip(NEXT) | instid1(VALU_DEP_2)
	v_fma_f64 v[36:37], v[24:25], v[28:29], v[24:25]
	v_fma_f64 v[44:45], v[26:27], v[32:33], v[26:27]
	s_delay_alu instid0(VALU_DEP_2) | instskip(NEXT) | instid1(VALU_DEP_2)
	v_mul_f64 v[32:33], v[34:35], v[36:37]
	v_mul_f64 v[46:47], v[42:43], v[44:45]
	s_delay_alu instid0(VALU_DEP_2)
	v_fma_f64 v[34:35], -v[22:23], v[32:33], v[34:35]
	ds_load_b128 v[22:25], v3
	ds_load_b128 v[26:29], v3 offset:1040
	v_fma_f64 v[42:43], -v[30:31], v[46:47], v[42:43]
	s_waitcnt lgkmcnt(1)
	v_mul_f64 v[48:49], v[8:9], -v[22:23]
	v_mul_f64 v[8:9], v[8:9], v[24:25]
	v_div_fmas_f64 v[50:51], v[34:35], v[36:37], v[32:33]
	ds_load_b128 v[30:33], v3 offset:2080
	ds_load_b128 v[34:37], v3 offset:4160
	s_mov_b32 vcc_lo, s0
	s_mov_b32 s0, exec_lo
	v_div_fmas_f64 v[42:43], v[42:43], v[44:45], v[46:47]
	s_waitcnt lgkmcnt(1)
	v_mul_f64 v[52:53], v[16:17], -v[30:31]
	v_fma_f64 v[24:25], v[24:25], v[6:7], v[48:49]
	v_mul_f64 v[16:17], v[16:17], v[32:33]
	v_fma_f64 v[22:23], v[22:23], v[6:7], v[8:9]
	ds_load_b128 v[6:9], v54 offset:3904
	v_div_fixup_f64 v[38:39], v[50:51], v[38:39], 1.0
	v_div_fixup_f64 v[40:41], v[42:43], v[40:41], 1.0
	v_fma_f64 v[32:33], v[32:33], v[14:15], v[52:53]
	v_fma_f64 v[44:45], v[30:31], v[14:15], v[16:17]
	s_delay_alu instid0(VALU_DEP_4)
	v_mul_f64 v[42:43], v[38:39], v[24:25]
	v_add_nc_u32_e32 v24, 0xffffff00, v54
	v_mul_f64 v[38:39], v[38:39], v[22:23]
	ds_load_b128 v[14:17], v24
	v_mul_f64 v[46:47], v[40:41], v[32:33]
	ds_load_b128 v[22:25], v56 offset:4416
	ds_load_b128 v[30:33], v56 offset:2336
	v_mul_f64 v[40:41], v[40:41], v[44:45]
	s_waitcnt lgkmcnt(0)
	s_barrier
	buffer_gl0_inv
	v_mul_f64 v[48:49], v[42:43], -v[12:13]
	v_mul_f64 v[50:51], v[42:43], v[10:11]
	v_mul_f64 v[52:53], v[42:43], -v[8:9]
	v_mul_f64 v[54:55], v[42:43], v[6:7]
	;; [unrolled: 2-line block ×4, first 2 shown]
	v_fma_f64 v[10:11], v[10:11], v[38:39], v[48:49]
	v_fma_f64 v[12:13], v[12:13], v[38:39], v[50:51]
	;; [unrolled: 1-line block ×4, first 2 shown]
	v_mul_f64 v[48:49], v[42:43], v[16:17]
	v_mul_f64 v[42:43], v[42:43], -v[14:15]
	v_mul_f64 v[50:51], v[46:47], v[32:33]
	v_fma_f64 v[18:19], v[18:19], v[40:41], v[44:45]
	v_fma_f64 v[20:21], v[20:21], v[40:41], v[56:57]
	;; [unrolled: 1-line block ×4, first 2 shown]
	v_add_f64 v[26:27], v[26:27], -v[10:11]
	v_add_f64 v[12:13], v[28:29], -v[12:13]
	;; [unrolled: 1-line block ×4, first 2 shown]
	v_mul_f64 v[36:37], v[46:47], -v[30:31]
	v_fma_f64 v[6:7], -v[14:15], v[38:39], v[48:49]
	v_fma_f64 v[8:9], -v[16:17], v[38:39], v[42:43]
	;; [unrolled: 1-line block ×3, first 2 shown]
	v_add_f64 v[14:15], v[26:27], -v[18:19]
	v_add_f64 v[16:17], v[12:13], -v[20:21]
	;; [unrolled: 1-line block ×4, first 2 shown]
	v_fma_f64 v[12:13], -v[32:33], v[40:41], v[36:37]
	ds_store_b128 v3, v[14:17] offset:1040
	ds_store_b128 v3, v[6:9]
	ds_store_b128 v3, v[18:21] offset:4160
	ds_store_b128 v3, v[10:13] offset:2080
	s_waitcnt lgkmcnt(0)
	s_barrier
	buffer_gl0_inv
	v_cmpx_gt_u32_e32 32, v0
	s_cbranch_execz .LBB68_2
; %bb.1:
	v_add_nc_u32_e32 v14, 0x410, v3
	ds_load_b128 v[6:9], v14
	ds_load_b128 v[10:13], v3 offset:512
	ds_load_b128 v[14:17], v14 offset:512
	ds_load_b128 v[18:21], v5
	s_waitcnt lgkmcnt(1)
	v_mul_f64 v[22:23], v[8:9], v[14:15]
	s_waitcnt lgkmcnt(0)
	v_mul_f64 v[24:25], v[12:13], v[18:19]
	v_mul_f64 v[26:27], v[8:9], -v[16:17]
	v_mul_f64 v[28:29], v[12:13], -v[20:21]
	s_delay_alu instid0(VALU_DEP_4) | instskip(NEXT) | instid1(VALU_DEP_4)
	v_fma_f64 v[22:23], v[16:17], v[6:7], v[22:23]
	v_fma_f64 v[24:25], v[20:21], v[10:11], v[24:25]
	s_delay_alu instid0(VALU_DEP_4) | instskip(NEXT) | instid1(VALU_DEP_4)
	v_fma_f64 v[26:27], v[14:15], v[6:7], v[26:27]
	v_fma_f64 v[28:29], v[18:19], v[10:11], v[28:29]
	s_delay_alu instid0(VALU_DEP_3) | instskip(NEXT) | instid1(VALU_DEP_2)
	v_add_f64 v[30:31], v[22:23], -v[24:25]
	v_add_f64 v[32:33], v[26:27], -v[28:29]
	s_delay_alu instid0(VALU_DEP_2) | instskip(NEXT) | instid1(VALU_DEP_1)
	v_mul_f64 v[22:23], v[30:31], v[30:31]
	v_fma_f64 v[34:35], v[32:33], v[32:33], v[22:23]
	s_delay_alu instid0(VALU_DEP_1) | instskip(SKIP_1) | instid1(VALU_DEP_2)
	v_div_scale_f64 v[22:23], null, v[34:35], v[34:35], 1.0
	v_div_scale_f64 v[28:29], vcc_lo, 1.0, v[34:35], 1.0
	v_rcp_f64_e32 v[24:25], v[22:23]
	s_waitcnt_depctr 0xfff
	v_fma_f64 v[26:27], -v[22:23], v[24:25], 1.0
	s_delay_alu instid0(VALU_DEP_1) | instskip(NEXT) | instid1(VALU_DEP_1)
	v_fma_f64 v[24:25], v[24:25], v[26:27], v[24:25]
	v_fma_f64 v[26:27], -v[22:23], v[24:25], 1.0
	s_delay_alu instid0(VALU_DEP_1) | instskip(NEXT) | instid1(VALU_DEP_1)
	v_fma_f64 v[36:37], v[24:25], v[26:27], v[24:25]
	v_mul_f64 v[38:39], v[28:29], v[36:37]
	s_delay_alu instid0(VALU_DEP_1)
	v_fma_f64 v[40:41], -v[22:23], v[38:39], v[28:29]
	ds_load_b128 v[22:25], v4
	ds_load_b128 v[26:29], v4 offset:512
	s_waitcnt lgkmcnt(1)
	v_mul_f64 v[4:5], v[24:25], -v[16:17]
	v_mul_f64 v[42:43], v[14:15], v[24:25]
	s_waitcnt lgkmcnt(0)
	v_mul_f64 v[44:45], v[28:29], -v[20:21]
	v_mul_f64 v[46:47], v[18:19], v[28:29]
	v_mul_f64 v[48:49], v[8:9], -v[28:29]
	v_mul_f64 v[8:9], v[8:9], v[26:27]
	v_div_fmas_f64 v[36:37], v[40:41], v[36:37], v[38:39]
	v_mul_f64 v[38:39], v[12:13], v[22:23]
	v_mul_f64 v[12:13], v[12:13], -v[24:25]
	v_fma_f64 v[4:5], v[14:15], v[22:23], v[4:5]
	v_fma_f64 v[14:15], v[16:17], v[22:23], v[42:43]
	;; [unrolled: 1-line block ×5, first 2 shown]
	v_fma_f64 v[26:27], v[32:33], 0, -v[30:31]
	v_fma_f64 v[6:7], v[28:29], v[6:7], v[8:9]
	v_div_fixup_f64 v[34:35], v[36:37], v[34:35], 1.0
	v_fma_f64 v[8:9], v[24:25], v[10:11], v[38:39]
	v_fma_f64 v[10:11], v[22:23], v[10:11], v[12:13]
	v_add_f64 v[4:5], v[4:5], -v[16:17]
	v_add_f64 v[12:13], v[14:15], -v[18:19]
	v_fma_f64 v[14:15], v[30:31], 0, v[32:33]
	v_mul_f64 v[18:19], v[26:27], v[34:35]
	v_add_f64 v[16:17], v[6:7], -v[8:9]
	v_add_f64 v[8:9], v[20:21], -v[10:11]
	s_delay_alu instid0(VALU_DEP_4) | instskip(NEXT) | instid1(VALU_DEP_4)
	v_mul_f64 v[10:11], v[14:15], v[34:35]
	v_mul_f64 v[6:7], v[18:19], -v[12:13]
	v_mul_f64 v[14:15], v[18:19], v[4:5]
	v_mul_f64 v[20:21], v[18:19], -v[16:17]
	v_mul_f64 v[18:19], v[18:19], v[8:9]
	s_delay_alu instid0(VALU_DEP_4) | instskip(NEXT) | instid1(VALU_DEP_4)
	v_fma_f64 v[4:5], v[4:5], v[10:11], v[6:7]
	v_fma_f64 v[6:7], v[12:13], v[10:11], v[14:15]
	s_delay_alu instid0(VALU_DEP_4) | instskip(NEXT) | instid1(VALU_DEP_4)
	v_fma_f64 v[8:9], v[8:9], v[10:11], v[20:21]
	v_fma_f64 v[10:11], v[16:17], v[10:11], v[18:19]
	ds_store_b128 v3, v[4:7] offset:3120
	ds_store_b128 v3, v[8:11] offset:3632
.LBB68_2:
	s_or_b32 exec_lo, exec_lo, s0
	v_lshl_add_u32 v0, v0, 4, 0xc30
	s_waitcnt lgkmcnt(0)
	s_barrier
	buffer_gl0_inv
	ds_load_2addr_b64 v[3:6], v0 offset1:1
	s_waitcnt lgkmcnt(0)
	global_store_b128 v[1:2], v[3:6], off
	s_nop 0
	s_sendmsg sendmsg(MSG_DEALLOC_VGPRS)
	s_endpgm
	.section	.rodata,"a",@progbits
	.p2align	6, 0x0
	.amdhsa_kernel _ZN9rocsparseL49gtsv_nopivot_strided_batch_pcr_pow2_shared_kernelILj64E21rocsparse_complex_numIdEEEviiiPKT0_S5_S5_PS3_
		.amdhsa_group_segment_fixed_size 5200
		.amdhsa_private_segment_fixed_size 0
		.amdhsa_kernarg_size 48
		.amdhsa_user_sgpr_count 15
		.amdhsa_user_sgpr_dispatch_ptr 0
		.amdhsa_user_sgpr_queue_ptr 0
		.amdhsa_user_sgpr_kernarg_segment_ptr 1
		.amdhsa_user_sgpr_dispatch_id 0
		.amdhsa_user_sgpr_private_segment_size 0
		.amdhsa_wavefront_size32 1
		.amdhsa_uses_dynamic_stack 0
		.amdhsa_enable_private_segment 0
		.amdhsa_system_sgpr_workgroup_id_x 1
		.amdhsa_system_sgpr_workgroup_id_y 0
		.amdhsa_system_sgpr_workgroup_id_z 0
		.amdhsa_system_sgpr_workgroup_info 0
		.amdhsa_system_vgpr_workitem_id 0
		.amdhsa_next_free_vgpr 62
		.amdhsa_next_free_sgpr 16
		.amdhsa_reserve_vcc 1
		.amdhsa_float_round_mode_32 0
		.amdhsa_float_round_mode_16_64 0
		.amdhsa_float_denorm_mode_32 3
		.amdhsa_float_denorm_mode_16_64 3
		.amdhsa_dx10_clamp 1
		.amdhsa_ieee_mode 1
		.amdhsa_fp16_overflow 0
		.amdhsa_workgroup_processor_mode 1
		.amdhsa_memory_ordered 1
		.amdhsa_forward_progress 0
		.amdhsa_shared_vgpr_count 0
		.amdhsa_exception_fp_ieee_invalid_op 0
		.amdhsa_exception_fp_denorm_src 0
		.amdhsa_exception_fp_ieee_div_zero 0
		.amdhsa_exception_fp_ieee_overflow 0
		.amdhsa_exception_fp_ieee_underflow 0
		.amdhsa_exception_fp_ieee_inexact 0
		.amdhsa_exception_int_div_zero 0
	.end_amdhsa_kernel
	.section	.text._ZN9rocsparseL49gtsv_nopivot_strided_batch_pcr_pow2_shared_kernelILj64E21rocsparse_complex_numIdEEEviiiPKT0_S5_S5_PS3_,"axG",@progbits,_ZN9rocsparseL49gtsv_nopivot_strided_batch_pcr_pow2_shared_kernelILj64E21rocsparse_complex_numIdEEEviiiPKT0_S5_S5_PS3_,comdat
.Lfunc_end68:
	.size	_ZN9rocsparseL49gtsv_nopivot_strided_batch_pcr_pow2_shared_kernelILj64E21rocsparse_complex_numIdEEEviiiPKT0_S5_S5_PS3_, .Lfunc_end68-_ZN9rocsparseL49gtsv_nopivot_strided_batch_pcr_pow2_shared_kernelILj64E21rocsparse_complex_numIdEEEviiiPKT0_S5_S5_PS3_
                                        ; -- End function
	.section	.AMDGPU.csdata,"",@progbits
; Kernel info:
; codeLenInByte = 4860
; NumSgprs: 18
; NumVgprs: 62
; ScratchSize: 0
; MemoryBound: 0
; FloatMode: 240
; IeeeMode: 1
; LDSByteSize: 5200 bytes/workgroup (compile time only)
; SGPRBlocks: 2
; VGPRBlocks: 7
; NumSGPRsForWavesPerEU: 18
; NumVGPRsForWavesPerEU: 62
; Occupancy: 13
; WaveLimiterHint : 0
; COMPUTE_PGM_RSRC2:SCRATCH_EN: 0
; COMPUTE_PGM_RSRC2:USER_SGPR: 15
; COMPUTE_PGM_RSRC2:TRAP_HANDLER: 0
; COMPUTE_PGM_RSRC2:TGID_X_EN: 1
; COMPUTE_PGM_RSRC2:TGID_Y_EN: 0
; COMPUTE_PGM_RSRC2:TGID_Z_EN: 0
; COMPUTE_PGM_RSRC2:TIDIG_COMP_CNT: 0
	.section	.text._ZN9rocsparseL51gtsv_nopivot_strided_batch_crpcr_pow2_shared_kernelILj64ELj64E21rocsparse_complex_numIdEEEviiiPKT1_S5_S5_PS3_,"axG",@progbits,_ZN9rocsparseL51gtsv_nopivot_strided_batch_crpcr_pow2_shared_kernelILj64ELj64E21rocsparse_complex_numIdEEEviiiPKT1_S5_S5_PS3_,comdat
	.globl	_ZN9rocsparseL51gtsv_nopivot_strided_batch_crpcr_pow2_shared_kernelILj64ELj64E21rocsparse_complex_numIdEEEviiiPKT1_S5_S5_PS3_ ; -- Begin function _ZN9rocsparseL51gtsv_nopivot_strided_batch_crpcr_pow2_shared_kernelILj64ELj64E21rocsparse_complex_numIdEEEviiiPKT1_S5_S5_PS3_
	.p2align	8
	.type	_ZN9rocsparseL51gtsv_nopivot_strided_batch_crpcr_pow2_shared_kernelILj64ELj64E21rocsparse_complex_numIdEEEviiiPKT1_S5_S5_PS3_,@function
_ZN9rocsparseL51gtsv_nopivot_strided_batch_crpcr_pow2_shared_kernelILj64ELj64E21rocsparse_complex_numIdEEEviiiPKT1_S5_S5_PS3_: ; @_ZN9rocsparseL51gtsv_nopivot_strided_batch_crpcr_pow2_shared_kernelILj64ELj64E21rocsparse_complex_numIdEEEviiiPKT1_S5_S5_PS3_
; %bb.0:
	s_clause 0x1
	s_load_b32 s8, s[0:1], 0x8
	s_load_b256 s[0:7], s[0:1], 0x10
	s_waitcnt lgkmcnt(0)
	v_mad_u64_u32 v[1:2], null, s15, s8, v[0:1]
	s_delay_alu instid0(VALU_DEP_1) | instskip(SKIP_1) | instid1(VALU_DEP_2)
	v_dual_mov_b32 v4, 0 :: v_dual_add_nc_u32 v3, 64, v1
	v_ashrrev_i32_e32 v2, 31, v1
	v_lshlrev_b64 v[3:4], 4, v[3:4]
	s_delay_alu instid0(VALU_DEP_2) | instskip(NEXT) | instid1(VALU_DEP_1)
	v_lshlrev_b64 v[1:2], 4, v[1:2]
	v_add_co_u32 v5, vcc_lo, s0, v1
	s_delay_alu instid0(VALU_DEP_2) | instskip(NEXT) | instid1(VALU_DEP_4)
	v_add_co_ci_u32_e32 v6, vcc_lo, s1, v2, vcc_lo
	v_add_co_u32 v8, vcc_lo, s0, v3
	v_add_co_ci_u32_e32 v9, vcc_lo, s1, v4, vcc_lo
	v_add_co_u32 v12, vcc_lo, s2, v1
	v_add_co_ci_u32_e32 v13, vcc_lo, s3, v2, vcc_lo
	v_add_co_u32 v21, vcc_lo, s2, v3
	v_add_co_ci_u32_e32 v22, vcc_lo, s3, v4, vcc_lo
	v_add_co_u32 v23, vcc_lo, s4, v1
	v_add_co_ci_u32_e32 v24, vcc_lo, s5, v2, vcc_lo
	v_add_co_u32 v35, vcc_lo, s4, v3
	v_add_co_ci_u32_e32 v36, vcc_lo, s5, v4, vcc_lo
	v_add_co_u32 v17, vcc_lo, s6, v1
	v_add_co_ci_u32_e32 v18, vcc_lo, s7, v2, vcc_lo
	v_add_co_u32 v19, vcc_lo, s6, v3
	v_add_co_ci_u32_e32 v20, vcc_lo, s7, v4, vcc_lo
	s_clause 0x1
	global_load_b128 v[4:7], v[5:6], off
	global_load_b128 v[8:11], v[8:9], off
	;; [unrolled: 1-line block ×8, first 2 shown]
	v_lshlrev_b32_e32 v21, 4, v0
	v_cmp_gt_u32_e64 s0, 64, v0
	v_lshlrev_b32_e32 v22, 1, v0
	s_delay_alu instid0(VALU_DEP_3)
	v_or_b32_e32 v3, 0x800, v21
	v_or_b32_e32 v2, 0x1000, v21
	;; [unrolled: 1-line block ×6, first 2 shown]
	s_waitcnt vmcnt(7)
	ds_store_2addr_b64 v21, v[4:5], v[6:7] offset1:1
	s_waitcnt vmcnt(6)
	ds_store_2addr_b64 v21, v[8:9], v[10:11] offset0:128 offset1:129
	s_waitcnt vmcnt(5)
	ds_store_2addr_b64 v3, v[12:13], v[14:15] offset1:1
	s_waitcnt vmcnt(4)
	ds_store_2addr_b64 v2, v[23:24], v[25:26] offset1:1
	;; [unrolled: 2-line block ×6, first 2 shown]
	s_waitcnt lgkmcnt(0)
	s_barrier
	buffer_gl0_inv
	s_and_saveexec_b32 s2, s0
	s_cbranch_execz .LBB69_2
; %bb.1:
	v_add_nc_u32_e32 v59, v3, v21
	v_min_u32_e32 v11, 0x7d, v22
	v_add_nc_u32_e32 v60, v21, v21
	v_add_nc_u32_e32 v61, v2, v21
	;; [unrolled: 1-line block ×3, first 2 shown]
	ds_load_b128 v[3:6], v59
	ds_load_b128 v[7:10], v59 offset:16
	v_lshlrev_b32_e32 v53, 4, v11
	ds_load_b128 v[11:14], v53 offset:2080
	ds_load_b128 v[23:26], v53 offset:32
	s_waitcnt lgkmcnt(3)
	v_mul_f64 v[15:16], v[5:6], v[5:6]
	s_waitcnt lgkmcnt(1)
	v_mul_f64 v[27:28], v[13:14], v[13:14]
	s_delay_alu instid0(VALU_DEP_2) | instskip(NEXT) | instid1(VALU_DEP_2)
	v_fma_f64 v[15:16], v[3:4], v[3:4], v[15:16]
	v_fma_f64 v[35:36], v[11:12], v[11:12], v[27:28]
	s_delay_alu instid0(VALU_DEP_2) | instskip(SKIP_1) | instid1(VALU_DEP_3)
	v_div_scale_f64 v[27:28], null, v[15:16], v[15:16], 1.0
	v_div_scale_f64 v[41:42], vcc_lo, 1.0, v[15:16], 1.0
	v_div_scale_f64 v[31:32], null, v[35:36], v[35:36], 1.0
	v_div_scale_f64 v[43:44], s1, 1.0, v[35:36], 1.0
	s_delay_alu instid0(VALU_DEP_4) | instskip(NEXT) | instid1(VALU_DEP_2)
	v_rcp_f64_e32 v[29:30], v[27:28]
	v_rcp_f64_e32 v[33:34], v[31:32]
	s_waitcnt_depctr 0xfff
	v_fma_f64 v[37:38], -v[27:28], v[29:30], 1.0
	v_fma_f64 v[39:40], -v[31:32], v[33:34], 1.0
	s_delay_alu instid0(VALU_DEP_2) | instskip(NEXT) | instid1(VALU_DEP_2)
	v_fma_f64 v[29:30], v[29:30], v[37:38], v[29:30]
	v_fma_f64 v[33:34], v[33:34], v[39:40], v[33:34]
	s_delay_alu instid0(VALU_DEP_2) | instskip(NEXT) | instid1(VALU_DEP_2)
	v_fma_f64 v[37:38], -v[27:28], v[29:30], 1.0
	v_fma_f64 v[39:40], -v[31:32], v[33:34], 1.0
	s_delay_alu instid0(VALU_DEP_2) | instskip(NEXT) | instid1(VALU_DEP_2)
	v_fma_f64 v[37:38], v[29:30], v[37:38], v[29:30]
	v_fma_f64 v[39:40], v[33:34], v[39:40], v[33:34]
	s_delay_alu instid0(VALU_DEP_2) | instskip(NEXT) | instid1(VALU_DEP_2)
	v_mul_f64 v[33:34], v[41:42], v[37:38]
	v_mul_f64 v[45:46], v[43:44], v[39:40]
	s_delay_alu instid0(VALU_DEP_2)
	v_fma_f64 v[41:42], -v[27:28], v[33:34], v[41:42]
	ds_load_b128 v[27:30], v60 offset:16
	v_fma_f64 v[43:44], -v[31:32], v[45:46], v[43:44]
	v_div_fmas_f64 v[37:38], v[41:42], v[37:38], v[33:34]
	ds_load_b128 v[31:34], v61 offset:16
	s_waitcnt lgkmcnt(1)
	v_mul_f64 v[47:48], v[5:6], -v[27:28]
	s_mov_b32 vcc_lo, s1
	v_mul_f64 v[5:6], v[5:6], v[29:30]
	v_div_fmas_f64 v[39:40], v[43:44], v[39:40], v[45:46]
	s_waitcnt lgkmcnt(0)
	v_mul_f64 v[41:42], v[13:14], -v[31:32]
	v_mul_f64 v[43:44], v[13:14], v[33:34]
	v_div_fixup_f64 v[37:38], v[37:38], v[15:16], 1.0
	v_fma_f64 v[29:30], v[29:30], v[3:4], v[47:48]
	v_fma_f64 v[5:6], v[27:28], v[3:4], v[5:6]
	ds_load_b128 v[1:4], v61
	ds_load_b128 v[13:16], v62
	v_div_fixup_f64 v[39:40], v[39:40], v[35:36], 1.0
	v_fma_f64 v[33:34], v[33:34], v[11:12], v[41:42]
	v_fma_f64 v[11:12], v[31:32], v[11:12], v[43:44]
	v_mul_f64 v[41:42], v[37:38], v[29:30]
	ds_load_b128 v[27:30], v62 offset:16
	v_mul_f64 v[5:6], v[37:38], v[5:6]
	v_mul_f64 v[43:44], v[39:40], v[33:34]
	ds_load_b128 v[31:34], v53 offset:8224
	ds_load_b128 v[35:38], v53 offset:4128
	v_mul_f64 v[39:40], v[39:40], v[11:12]
	s_waitcnt lgkmcnt(4)
	v_mul_f64 v[45:46], v[41:42], -v[3:4]
	v_mul_f64 v[47:48], v[41:42], v[1:2]
	s_waitcnt lgkmcnt(3)
	v_mul_f64 v[49:50], v[41:42], -v[15:16]
	v_mul_f64 v[51:52], v[41:42], v[13:14]
	v_mul_f64 v[11:12], v[43:44], -v[25:26]
	v_mul_f64 v[53:54], v[43:44], v[23:24]
	s_waitcnt lgkmcnt(1)
	v_mul_f64 v[55:56], v[43:44], -v[33:34]
	v_mul_f64 v[57:58], v[43:44], v[31:32]
	v_fma_f64 v[45:46], v[1:2], v[5:6], v[45:46]
	v_fma_f64 v[47:48], v[3:4], v[5:6], v[47:48]
	;; [unrolled: 1-line block ×4, first 2 shown]
	ds_load_b128 v[1:4], v60
	s_waitcnt lgkmcnt(1)
	v_mul_f64 v[51:52], v[43:44], v[37:38]
	v_fma_f64 v[11:12], v[23:24], v[39:40], v[11:12]
	v_fma_f64 v[23:24], v[25:26], v[39:40], v[53:54]
	;; [unrolled: 1-line block ×4, first 2 shown]
	s_waitcnt lgkmcnt(0)
	v_mul_f64 v[49:50], v[41:42], v[3:4]
	v_mul_f64 v[41:42], v[41:42], -v[1:2]
	v_add_f64 v[7:8], v[7:8], -v[45:46]
	v_add_f64 v[33:34], v[9:10], -v[47:48]
	;; [unrolled: 1-line block ×4, first 2 shown]
	v_mul_f64 v[27:28], v[43:44], -v[35:36]
	v_fma_f64 v[1:2], -v[1:2], v[5:6], v[49:50]
	v_fma_f64 v[3:4], -v[3:4], v[5:6], v[41:42]
	;; [unrolled: 1-line block ×3, first 2 shown]
	v_add_f64 v[9:10], v[7:8], -v[11:12]
	v_add_f64 v[11:12], v[33:34], -v[23:24]
	;; [unrolled: 1-line block ×4, first 2 shown]
	v_fma_f64 v[7:8], -v[37:38], v[39:40], v[27:28]
	ds_store_b128 v59, v[9:12] offset:16
	ds_store_b128 v60, v[1:4] offset:16
	;; [unrolled: 1-line block ×4, first 2 shown]
.LBB69_2:
	s_or_b32 exec_lo, exec_lo, s2
	v_lshlrev_b32_e32 v23, 5, v0
	s_waitcnt lgkmcnt(0)
	s_barrier
	buffer_gl0_inv
	s_and_saveexec_b32 s1, s0
	s_cbranch_execz .LBB69_4
; %bb.3:
	ds_load_b128 v[1:4], v23 offset:16
	ds_load_b128 v[5:8], v23 offset:2064
	;; [unrolled: 1-line block ×4, first 2 shown]
	s_waitcnt lgkmcnt(3)
	ds_store_b128 v21, v[1:4] offset:10240
	s_waitcnt lgkmcnt(3)
	ds_store_b128 v21, v[5:8] offset:11264
	s_waitcnt lgkmcnt(3)
	ds_store_b128 v21, v[9:12] offset:12288
	s_waitcnt lgkmcnt(3)
	ds_store_b128 v21, v[13:16] offset:14336
.LBB69_4:
	s_or_b32 exec_lo, exec_lo, s1
	v_or_b32_e32 v26, 0x2800, v21
	v_or_b32_e32 v25, 0x3000, v21
	;; [unrolled: 1-line block ×4, first 2 shown]
	s_waitcnt lgkmcnt(0)
	s_barrier
	buffer_gl0_inv
                                        ; implicit-def: $vgpr9_vgpr10
                                        ; implicit-def: $vgpr1_vgpr2
                                        ; implicit-def: $vgpr13_vgpr14
                                        ; implicit-def: $vgpr5_vgpr6
	s_and_saveexec_b32 s2, s0
	s_cbranch_execz .LBB69_6
; %bb.5:
	v_max_u32_e32 v1, 1, v0
	v_min_u32_e32 v9, 62, v0
	s_delay_alu instid0(VALU_DEP_2) | instskip(NEXT) | instid1(VALU_DEP_2)
	v_lshlrev_b32_e32 v54, 4, v1
	v_lshlrev_b32_e32 v55, 4, v9
	ds_load_b128 v[1:4], v54 offset:11248
	ds_load_b128 v[5:8], v54 offset:10224
	;; [unrolled: 1-line block ×4, first 2 shown]
	s_waitcnt lgkmcnt(3)
	v_mul_f64 v[28:29], v[3:4], v[3:4]
	s_waitcnt lgkmcnt(1)
	v_mul_f64 v[30:31], v[11:12], v[11:12]
	s_delay_alu instid0(VALU_DEP_2) | instskip(NEXT) | instid1(VALU_DEP_2)
	v_fma_f64 v[36:37], v[1:2], v[1:2], v[28:29]
	v_fma_f64 v[38:39], v[9:10], v[9:10], v[30:31]
	s_delay_alu instid0(VALU_DEP_2) | instskip(NEXT) | instid1(VALU_DEP_2)
	v_div_scale_f64 v[28:29], null, v[36:37], v[36:37], 1.0
	v_div_scale_f64 v[40:41], null, v[38:39], v[38:39], 1.0
	v_div_scale_f64 v[44:45], vcc_lo, 1.0, v[36:37], 1.0
	v_div_scale_f64 v[48:49], s1, 1.0, v[38:39], 1.0
	s_delay_alu instid0(VALU_DEP_4) | instskip(NEXT) | instid1(VALU_DEP_3)
	v_rcp_f64_e32 v[30:31], v[28:29]
	v_rcp_f64_e32 v[32:33], v[40:41]
	s_waitcnt_depctr 0xfff
	v_fma_f64 v[34:35], -v[28:29], v[30:31], 1.0
	v_fma_f64 v[42:43], -v[40:41], v[32:33], 1.0
	s_delay_alu instid0(VALU_DEP_2) | instskip(NEXT) | instid1(VALU_DEP_2)
	v_fma_f64 v[30:31], v[30:31], v[34:35], v[30:31]
	v_fma_f64 v[32:33], v[32:33], v[42:43], v[32:33]
	s_delay_alu instid0(VALU_DEP_2) | instskip(NEXT) | instid1(VALU_DEP_2)
	v_fma_f64 v[34:35], -v[28:29], v[30:31], 1.0
	v_fma_f64 v[42:43], -v[40:41], v[32:33], 1.0
	s_delay_alu instid0(VALU_DEP_2) | instskip(NEXT) | instid1(VALU_DEP_2)
	v_fma_f64 v[46:47], v[30:31], v[34:35], v[30:31]
	v_fma_f64 v[42:43], v[32:33], v[42:43], v[32:33]
	s_delay_alu instid0(VALU_DEP_2) | instskip(NEXT) | instid1(VALU_DEP_2)
	v_mul_f64 v[50:51], v[44:45], v[46:47]
	v_mul_f64 v[52:53], v[48:49], v[42:43]
	s_delay_alu instid0(VALU_DEP_2)
	v_fma_f64 v[44:45], -v[28:29], v[50:51], v[44:45]
	ds_load_b128 v[28:31], v26
	ds_load_b128 v[32:35], v25
	v_fma_f64 v[40:41], -v[40:41], v[52:53], v[48:49]
	s_waitcnt lgkmcnt(1)
	v_mul_f64 v[48:49], v[3:4], -v[28:29]
	v_mul_f64 v[3:4], v[3:4], v[30:31]
	v_div_fmas_f64 v[44:45], v[44:45], v[46:47], v[50:51]
	s_mov_b32 vcc_lo, s1
	s_waitcnt lgkmcnt(0)
	v_mul_f64 v[46:47], v[11:12], -v[32:33]
	v_div_fmas_f64 v[40:41], v[40:41], v[42:43], v[52:53]
	v_mul_f64 v[11:12], v[11:12], v[34:35]
	v_fma_f64 v[30:31], v[30:31], v[1:2], v[48:49]
	v_div_fixup_f64 v[36:37], v[44:45], v[36:37], 1.0
	v_fma_f64 v[34:35], v[34:35], v[9:10], v[46:47]
	v_div_fixup_f64 v[38:39], v[40:41], v[38:39], 1.0
	v_fma_f64 v[40:41], v[28:29], v[1:2], v[3:4]
	v_fma_f64 v[44:45], v[32:33], v[9:10], v[11:12]
	v_mul_f64 v[42:43], v[36:37], v[30:31]
	ds_load_b128 v[1:4], v54 offset:12272
	ds_load_b128 v[28:31], v54 offset:14320
	v_mul_f64 v[46:47], v[38:39], v[34:35]
	v_mul_f64 v[36:37], v[36:37], v[40:41]
	ds_load_b128 v[9:12], v55 offset:14352
	ds_load_b128 v[32:35], v55 offset:12304
	v_mul_f64 v[38:39], v[38:39], v[44:45]
	s_waitcnt lgkmcnt(3)
	v_mul_f64 v[40:41], v[42:43], -v[3:4]
	v_mul_f64 v[48:49], v[42:43], v[1:2]
	s_waitcnt lgkmcnt(2)
	v_mul_f64 v[50:51], v[42:43], -v[30:31]
	v_mul_f64 v[52:53], v[42:43], v[28:29]
	v_mul_f64 v[44:45], v[46:47], -v[15:16]
	v_mul_f64 v[54:55], v[46:47], v[13:14]
	s_waitcnt lgkmcnt(1)
	v_mul_f64 v[56:57], v[46:47], -v[11:12]
	v_mul_f64 v[58:59], v[46:47], v[9:10]
	v_mul_f64 v[60:61], v[42:43], v[7:8]
	v_mul_f64 v[42:43], v[42:43], -v[5:6]
	s_waitcnt lgkmcnt(0)
	v_mul_f64 v[62:63], v[46:47], v[34:35]
	v_fma_f64 v[40:41], v[1:2], v[36:37], v[40:41]
	v_fma_f64 v[48:49], v[3:4], v[36:37], v[48:49]
	;; [unrolled: 1-line block ×4, first 2 shown]
	ds_load_b128 v[1:4], v27
	ds_load_b128 v[28:31], v24
	v_fma_f64 v[13:14], v[13:14], v[38:39], v[44:45]
	v_fma_f64 v[15:16], v[15:16], v[38:39], v[54:55]
	;; [unrolled: 1-line block ×4, first 2 shown]
	v_mul_f64 v[44:45], v[46:47], -v[32:33]
	v_fma_f64 v[5:6], -v[5:6], v[36:37], v[60:61]
	v_fma_f64 v[7:8], -v[7:8], v[36:37], v[42:43]
	s_waitcnt lgkmcnt(1)
	v_add_f64 v[40:41], v[1:2], -v[40:41]
	v_add_f64 v[3:4], v[3:4], -v[48:49]
	s_waitcnt lgkmcnt(0)
	v_add_f64 v[28:29], v[28:29], -v[50:51]
	v_add_f64 v[30:31], v[30:31], -v[52:53]
	v_fma_f64 v[1:2], -v[32:33], v[38:39], v[62:63]
	v_add_f64 v[13:14], v[40:41], -v[13:14]
	v_add_f64 v[15:16], v[3:4], -v[15:16]
	v_add_f64 v[9:10], v[28:29], -v[9:10]
	v_add_f64 v[11:12], v[30:31], -v[11:12]
	v_fma_f64 v[3:4], -v[34:35], v[38:39], v[44:45]
.LBB69_6:
	s_or_b32 exec_lo, exec_lo, s2
	s_barrier
	buffer_gl0_inv
	s_and_saveexec_b32 s1, s0
	s_cbranch_execz .LBB69_8
; %bb.7:
	ds_store_b128 v27, v[13:16]
	ds_store_b128 v24, v[9:12]
	;; [unrolled: 1-line block ×4, first 2 shown]
.LBB69_8:
	s_or_b32 exec_lo, exec_lo, s1
	s_waitcnt lgkmcnt(0)
	s_barrier
	buffer_gl0_inv
	s_and_saveexec_b32 s2, s0
	s_cbranch_execz .LBB69_10
; %bb.9:
	v_max_u32_e32 v1, 2, v0
	v_min_u32_e32 v9, 61, v0
	s_delay_alu instid0(VALU_DEP_2) | instskip(NEXT) | instid1(VALU_DEP_2)
	v_lshlrev_b32_e32 v54, 4, v1
	v_lshlrev_b32_e32 v55, 4, v9
	ds_load_b128 v[1:4], v54 offset:11232
	ds_load_b128 v[5:8], v54 offset:10208
	ds_load_b128 v[9:12], v55 offset:11296
	ds_load_b128 v[13:16], v55 offset:10272
	s_waitcnt lgkmcnt(3)
	v_mul_f64 v[28:29], v[3:4], v[3:4]
	s_waitcnt lgkmcnt(1)
	v_mul_f64 v[30:31], v[11:12], v[11:12]
	s_delay_alu instid0(VALU_DEP_2) | instskip(NEXT) | instid1(VALU_DEP_2)
	v_fma_f64 v[36:37], v[1:2], v[1:2], v[28:29]
	v_fma_f64 v[38:39], v[9:10], v[9:10], v[30:31]
	s_delay_alu instid0(VALU_DEP_2) | instskip(NEXT) | instid1(VALU_DEP_2)
	v_div_scale_f64 v[28:29], null, v[36:37], v[36:37], 1.0
	v_div_scale_f64 v[40:41], null, v[38:39], v[38:39], 1.0
	v_div_scale_f64 v[44:45], vcc_lo, 1.0, v[36:37], 1.0
	v_div_scale_f64 v[48:49], s1, 1.0, v[38:39], 1.0
	s_delay_alu instid0(VALU_DEP_4) | instskip(NEXT) | instid1(VALU_DEP_3)
	v_rcp_f64_e32 v[30:31], v[28:29]
	v_rcp_f64_e32 v[32:33], v[40:41]
	s_waitcnt_depctr 0xfff
	v_fma_f64 v[34:35], -v[28:29], v[30:31], 1.0
	v_fma_f64 v[42:43], -v[40:41], v[32:33], 1.0
	s_delay_alu instid0(VALU_DEP_2) | instskip(NEXT) | instid1(VALU_DEP_2)
	v_fma_f64 v[30:31], v[30:31], v[34:35], v[30:31]
	v_fma_f64 v[32:33], v[32:33], v[42:43], v[32:33]
	s_delay_alu instid0(VALU_DEP_2) | instskip(NEXT) | instid1(VALU_DEP_2)
	v_fma_f64 v[34:35], -v[28:29], v[30:31], 1.0
	v_fma_f64 v[42:43], -v[40:41], v[32:33], 1.0
	s_delay_alu instid0(VALU_DEP_2) | instskip(NEXT) | instid1(VALU_DEP_2)
	v_fma_f64 v[46:47], v[30:31], v[34:35], v[30:31]
	v_fma_f64 v[42:43], v[32:33], v[42:43], v[32:33]
	s_delay_alu instid0(VALU_DEP_2) | instskip(NEXT) | instid1(VALU_DEP_2)
	v_mul_f64 v[50:51], v[44:45], v[46:47]
	v_mul_f64 v[52:53], v[48:49], v[42:43]
	s_delay_alu instid0(VALU_DEP_2)
	v_fma_f64 v[44:45], -v[28:29], v[50:51], v[44:45]
	ds_load_b128 v[28:31], v26
	ds_load_b128 v[32:35], v25
	v_fma_f64 v[40:41], -v[40:41], v[52:53], v[48:49]
	s_waitcnt lgkmcnt(1)
	v_mul_f64 v[48:49], v[3:4], -v[28:29]
	v_mul_f64 v[3:4], v[3:4], v[30:31]
	v_div_fmas_f64 v[44:45], v[44:45], v[46:47], v[50:51]
	s_mov_b32 vcc_lo, s1
	s_waitcnt lgkmcnt(0)
	v_mul_f64 v[46:47], v[11:12], -v[32:33]
	v_div_fmas_f64 v[40:41], v[40:41], v[42:43], v[52:53]
	v_mul_f64 v[11:12], v[11:12], v[34:35]
	v_fma_f64 v[30:31], v[30:31], v[1:2], v[48:49]
	v_div_fixup_f64 v[36:37], v[44:45], v[36:37], 1.0
	v_fma_f64 v[34:35], v[34:35], v[9:10], v[46:47]
	v_div_fixup_f64 v[38:39], v[40:41], v[38:39], 1.0
	v_fma_f64 v[40:41], v[28:29], v[1:2], v[3:4]
	v_fma_f64 v[44:45], v[32:33], v[9:10], v[11:12]
	v_mul_f64 v[42:43], v[36:37], v[30:31]
	ds_load_b128 v[1:4], v54 offset:12256
	ds_load_b128 v[28:31], v54 offset:14304
	v_mul_f64 v[46:47], v[38:39], v[34:35]
	v_mul_f64 v[36:37], v[36:37], v[40:41]
	ds_load_b128 v[9:12], v55 offset:14368
	ds_load_b128 v[32:35], v55 offset:12320
	v_mul_f64 v[38:39], v[38:39], v[44:45]
	s_waitcnt lgkmcnt(3)
	v_mul_f64 v[40:41], v[42:43], -v[3:4]
	v_mul_f64 v[48:49], v[42:43], v[1:2]
	s_waitcnt lgkmcnt(2)
	v_mul_f64 v[50:51], v[42:43], -v[30:31]
	v_mul_f64 v[52:53], v[42:43], v[28:29]
	v_mul_f64 v[44:45], v[46:47], -v[15:16]
	v_mul_f64 v[54:55], v[46:47], v[13:14]
	s_waitcnt lgkmcnt(1)
	v_mul_f64 v[56:57], v[46:47], -v[11:12]
	v_mul_f64 v[58:59], v[46:47], v[9:10]
	v_mul_f64 v[60:61], v[42:43], v[7:8]
	v_mul_f64 v[42:43], v[42:43], -v[5:6]
	s_waitcnt lgkmcnt(0)
	v_mul_f64 v[62:63], v[46:47], v[34:35]
	v_fma_f64 v[40:41], v[1:2], v[36:37], v[40:41]
	v_fma_f64 v[48:49], v[3:4], v[36:37], v[48:49]
	;; [unrolled: 1-line block ×4, first 2 shown]
	ds_load_b128 v[1:4], v27
	ds_load_b128 v[28:31], v24
	v_fma_f64 v[13:14], v[13:14], v[38:39], v[44:45]
	v_fma_f64 v[15:16], v[15:16], v[38:39], v[54:55]
	;; [unrolled: 1-line block ×4, first 2 shown]
	v_mul_f64 v[44:45], v[46:47], -v[32:33]
	v_fma_f64 v[5:6], -v[5:6], v[36:37], v[60:61]
	v_fma_f64 v[7:8], -v[7:8], v[36:37], v[42:43]
	s_waitcnt lgkmcnt(1)
	v_add_f64 v[40:41], v[1:2], -v[40:41]
	v_add_f64 v[3:4], v[3:4], -v[48:49]
	s_waitcnt lgkmcnt(0)
	v_add_f64 v[28:29], v[28:29], -v[50:51]
	v_add_f64 v[30:31], v[30:31], -v[52:53]
	v_fma_f64 v[1:2], -v[32:33], v[38:39], v[62:63]
	v_add_f64 v[13:14], v[40:41], -v[13:14]
	v_add_f64 v[15:16], v[3:4], -v[15:16]
	;; [unrolled: 1-line block ×4, first 2 shown]
	v_fma_f64 v[3:4], -v[34:35], v[38:39], v[44:45]
.LBB69_10:
	s_or_b32 exec_lo, exec_lo, s2
	s_barrier
	buffer_gl0_inv
	s_and_saveexec_b32 s1, s0
	s_cbranch_execz .LBB69_12
; %bb.11:
	ds_store_b128 v27, v[13:16]
	ds_store_b128 v24, v[9:12]
	;; [unrolled: 1-line block ×4, first 2 shown]
.LBB69_12:
	s_or_b32 exec_lo, exec_lo, s1
	s_waitcnt lgkmcnt(0)
	s_barrier
	buffer_gl0_inv
	s_and_saveexec_b32 s2, s0
	s_cbranch_execz .LBB69_14
; %bb.13:
	v_max_u32_e32 v1, 4, v0
	v_min_u32_e32 v9, 59, v0
	s_delay_alu instid0(VALU_DEP_2) | instskip(NEXT) | instid1(VALU_DEP_2)
	v_lshlrev_b32_e32 v54, 4, v1
	v_lshlrev_b32_e32 v55, 4, v9
	ds_load_b128 v[1:4], v54 offset:11200
	ds_load_b128 v[5:8], v54 offset:10176
	;; [unrolled: 1-line block ×4, first 2 shown]
	s_waitcnt lgkmcnt(3)
	v_mul_f64 v[28:29], v[3:4], v[3:4]
	s_waitcnt lgkmcnt(1)
	v_mul_f64 v[30:31], v[11:12], v[11:12]
	s_delay_alu instid0(VALU_DEP_2) | instskip(NEXT) | instid1(VALU_DEP_2)
	v_fma_f64 v[36:37], v[1:2], v[1:2], v[28:29]
	v_fma_f64 v[38:39], v[9:10], v[9:10], v[30:31]
	s_delay_alu instid0(VALU_DEP_2) | instskip(NEXT) | instid1(VALU_DEP_2)
	v_div_scale_f64 v[28:29], null, v[36:37], v[36:37], 1.0
	v_div_scale_f64 v[40:41], null, v[38:39], v[38:39], 1.0
	v_div_scale_f64 v[44:45], vcc_lo, 1.0, v[36:37], 1.0
	v_div_scale_f64 v[48:49], s1, 1.0, v[38:39], 1.0
	s_delay_alu instid0(VALU_DEP_4) | instskip(NEXT) | instid1(VALU_DEP_3)
	v_rcp_f64_e32 v[30:31], v[28:29]
	v_rcp_f64_e32 v[32:33], v[40:41]
	s_waitcnt_depctr 0xfff
	v_fma_f64 v[34:35], -v[28:29], v[30:31], 1.0
	v_fma_f64 v[42:43], -v[40:41], v[32:33], 1.0
	s_delay_alu instid0(VALU_DEP_2) | instskip(NEXT) | instid1(VALU_DEP_2)
	v_fma_f64 v[30:31], v[30:31], v[34:35], v[30:31]
	v_fma_f64 v[32:33], v[32:33], v[42:43], v[32:33]
	s_delay_alu instid0(VALU_DEP_2) | instskip(NEXT) | instid1(VALU_DEP_2)
	v_fma_f64 v[34:35], -v[28:29], v[30:31], 1.0
	v_fma_f64 v[42:43], -v[40:41], v[32:33], 1.0
	s_delay_alu instid0(VALU_DEP_2) | instskip(NEXT) | instid1(VALU_DEP_2)
	v_fma_f64 v[46:47], v[30:31], v[34:35], v[30:31]
	v_fma_f64 v[42:43], v[32:33], v[42:43], v[32:33]
	s_delay_alu instid0(VALU_DEP_2) | instskip(NEXT) | instid1(VALU_DEP_2)
	v_mul_f64 v[50:51], v[44:45], v[46:47]
	v_mul_f64 v[52:53], v[48:49], v[42:43]
	s_delay_alu instid0(VALU_DEP_2)
	v_fma_f64 v[44:45], -v[28:29], v[50:51], v[44:45]
	ds_load_b128 v[28:31], v26
	ds_load_b128 v[32:35], v25
	v_fma_f64 v[40:41], -v[40:41], v[52:53], v[48:49]
	s_waitcnt lgkmcnt(1)
	v_mul_f64 v[48:49], v[3:4], -v[28:29]
	v_mul_f64 v[3:4], v[3:4], v[30:31]
	v_div_fmas_f64 v[44:45], v[44:45], v[46:47], v[50:51]
	s_mov_b32 vcc_lo, s1
	s_waitcnt lgkmcnt(0)
	v_mul_f64 v[46:47], v[11:12], -v[32:33]
	v_div_fmas_f64 v[40:41], v[40:41], v[42:43], v[52:53]
	v_mul_f64 v[11:12], v[11:12], v[34:35]
	v_fma_f64 v[30:31], v[30:31], v[1:2], v[48:49]
	v_div_fixup_f64 v[36:37], v[44:45], v[36:37], 1.0
	v_fma_f64 v[34:35], v[34:35], v[9:10], v[46:47]
	v_div_fixup_f64 v[38:39], v[40:41], v[38:39], 1.0
	v_fma_f64 v[40:41], v[28:29], v[1:2], v[3:4]
	v_fma_f64 v[44:45], v[32:33], v[9:10], v[11:12]
	v_mul_f64 v[42:43], v[36:37], v[30:31]
	ds_load_b128 v[1:4], v54 offset:12224
	ds_load_b128 v[28:31], v54 offset:14272
	v_mul_f64 v[46:47], v[38:39], v[34:35]
	v_mul_f64 v[36:37], v[36:37], v[40:41]
	ds_load_b128 v[9:12], v55 offset:14400
	ds_load_b128 v[32:35], v55 offset:12352
	v_mul_f64 v[38:39], v[38:39], v[44:45]
	s_waitcnt lgkmcnt(3)
	v_mul_f64 v[40:41], v[42:43], -v[3:4]
	v_mul_f64 v[48:49], v[42:43], v[1:2]
	s_waitcnt lgkmcnt(2)
	v_mul_f64 v[50:51], v[42:43], -v[30:31]
	v_mul_f64 v[52:53], v[42:43], v[28:29]
	v_mul_f64 v[44:45], v[46:47], -v[15:16]
	v_mul_f64 v[54:55], v[46:47], v[13:14]
	s_waitcnt lgkmcnt(1)
	v_mul_f64 v[56:57], v[46:47], -v[11:12]
	v_mul_f64 v[58:59], v[46:47], v[9:10]
	v_mul_f64 v[60:61], v[42:43], v[7:8]
	v_mul_f64 v[42:43], v[42:43], -v[5:6]
	s_waitcnt lgkmcnt(0)
	v_mul_f64 v[62:63], v[46:47], v[34:35]
	v_fma_f64 v[40:41], v[1:2], v[36:37], v[40:41]
	v_fma_f64 v[48:49], v[3:4], v[36:37], v[48:49]
	;; [unrolled: 1-line block ×4, first 2 shown]
	ds_load_b128 v[1:4], v27
	ds_load_b128 v[28:31], v24
	v_fma_f64 v[13:14], v[13:14], v[38:39], v[44:45]
	v_fma_f64 v[15:16], v[15:16], v[38:39], v[54:55]
	v_fma_f64 v[9:10], v[9:10], v[38:39], v[56:57]
	v_fma_f64 v[11:12], v[11:12], v[38:39], v[58:59]
	v_mul_f64 v[44:45], v[46:47], -v[32:33]
	v_fma_f64 v[5:6], -v[5:6], v[36:37], v[60:61]
	v_fma_f64 v[7:8], -v[7:8], v[36:37], v[42:43]
	s_waitcnt lgkmcnt(1)
	v_add_f64 v[40:41], v[1:2], -v[40:41]
	v_add_f64 v[3:4], v[3:4], -v[48:49]
	s_waitcnt lgkmcnt(0)
	v_add_f64 v[28:29], v[28:29], -v[50:51]
	v_add_f64 v[30:31], v[30:31], -v[52:53]
	v_fma_f64 v[1:2], -v[32:33], v[38:39], v[62:63]
	v_add_f64 v[13:14], v[40:41], -v[13:14]
	v_add_f64 v[15:16], v[3:4], -v[15:16]
	v_add_f64 v[9:10], v[28:29], -v[9:10]
	v_add_f64 v[11:12], v[30:31], -v[11:12]
	v_fma_f64 v[3:4], -v[34:35], v[38:39], v[44:45]
.LBB69_14:
	s_or_b32 exec_lo, exec_lo, s2
	s_barrier
	buffer_gl0_inv
	s_and_saveexec_b32 s1, s0
	s_cbranch_execz .LBB69_16
; %bb.15:
	ds_store_b128 v27, v[13:16]
	ds_store_b128 v24, v[9:12]
	;; [unrolled: 1-line block ×4, first 2 shown]
.LBB69_16:
	s_or_b32 exec_lo, exec_lo, s1
	s_waitcnt lgkmcnt(0)
	s_barrier
	buffer_gl0_inv
	s_and_saveexec_b32 s2, s0
	s_cbranch_execz .LBB69_18
; %bb.17:
	v_max_u32_e32 v1, 8, v0
	v_min_u32_e32 v9, 55, v0
	s_delay_alu instid0(VALU_DEP_2) | instskip(NEXT) | instid1(VALU_DEP_2)
	v_lshlrev_b32_e32 v54, 4, v1
	v_lshlrev_b32_e32 v55, 4, v9
	ds_load_b128 v[1:4], v54 offset:11136
	ds_load_b128 v[5:8], v54 offset:10112
	;; [unrolled: 1-line block ×4, first 2 shown]
	s_waitcnt lgkmcnt(3)
	v_mul_f64 v[28:29], v[3:4], v[3:4]
	s_waitcnt lgkmcnt(1)
	v_mul_f64 v[30:31], v[11:12], v[11:12]
	s_delay_alu instid0(VALU_DEP_2) | instskip(NEXT) | instid1(VALU_DEP_2)
	v_fma_f64 v[36:37], v[1:2], v[1:2], v[28:29]
	v_fma_f64 v[38:39], v[9:10], v[9:10], v[30:31]
	s_delay_alu instid0(VALU_DEP_2) | instskip(NEXT) | instid1(VALU_DEP_2)
	v_div_scale_f64 v[28:29], null, v[36:37], v[36:37], 1.0
	v_div_scale_f64 v[40:41], null, v[38:39], v[38:39], 1.0
	v_div_scale_f64 v[44:45], vcc_lo, 1.0, v[36:37], 1.0
	v_div_scale_f64 v[48:49], s1, 1.0, v[38:39], 1.0
	s_delay_alu instid0(VALU_DEP_4) | instskip(NEXT) | instid1(VALU_DEP_3)
	v_rcp_f64_e32 v[30:31], v[28:29]
	v_rcp_f64_e32 v[32:33], v[40:41]
	s_waitcnt_depctr 0xfff
	v_fma_f64 v[34:35], -v[28:29], v[30:31], 1.0
	v_fma_f64 v[42:43], -v[40:41], v[32:33], 1.0
	s_delay_alu instid0(VALU_DEP_2) | instskip(NEXT) | instid1(VALU_DEP_2)
	v_fma_f64 v[30:31], v[30:31], v[34:35], v[30:31]
	v_fma_f64 v[32:33], v[32:33], v[42:43], v[32:33]
	s_delay_alu instid0(VALU_DEP_2) | instskip(NEXT) | instid1(VALU_DEP_2)
	v_fma_f64 v[34:35], -v[28:29], v[30:31], 1.0
	v_fma_f64 v[42:43], -v[40:41], v[32:33], 1.0
	s_delay_alu instid0(VALU_DEP_2) | instskip(NEXT) | instid1(VALU_DEP_2)
	v_fma_f64 v[46:47], v[30:31], v[34:35], v[30:31]
	v_fma_f64 v[42:43], v[32:33], v[42:43], v[32:33]
	s_delay_alu instid0(VALU_DEP_2) | instskip(NEXT) | instid1(VALU_DEP_2)
	v_mul_f64 v[50:51], v[44:45], v[46:47]
	v_mul_f64 v[52:53], v[48:49], v[42:43]
	s_delay_alu instid0(VALU_DEP_2)
	v_fma_f64 v[44:45], -v[28:29], v[50:51], v[44:45]
	ds_load_b128 v[28:31], v26
	ds_load_b128 v[32:35], v25
	v_fma_f64 v[40:41], -v[40:41], v[52:53], v[48:49]
	s_waitcnt lgkmcnt(1)
	v_mul_f64 v[48:49], v[3:4], -v[28:29]
	v_mul_f64 v[3:4], v[3:4], v[30:31]
	v_div_fmas_f64 v[44:45], v[44:45], v[46:47], v[50:51]
	s_mov_b32 vcc_lo, s1
	s_waitcnt lgkmcnt(0)
	v_mul_f64 v[46:47], v[11:12], -v[32:33]
	v_div_fmas_f64 v[40:41], v[40:41], v[42:43], v[52:53]
	v_mul_f64 v[11:12], v[11:12], v[34:35]
	v_fma_f64 v[30:31], v[30:31], v[1:2], v[48:49]
	v_div_fixup_f64 v[36:37], v[44:45], v[36:37], 1.0
	v_fma_f64 v[34:35], v[34:35], v[9:10], v[46:47]
	v_div_fixup_f64 v[38:39], v[40:41], v[38:39], 1.0
	v_fma_f64 v[40:41], v[28:29], v[1:2], v[3:4]
	v_fma_f64 v[44:45], v[32:33], v[9:10], v[11:12]
	v_mul_f64 v[42:43], v[36:37], v[30:31]
	ds_load_b128 v[1:4], v54 offset:12160
	ds_load_b128 v[28:31], v54 offset:14208
	v_mul_f64 v[46:47], v[38:39], v[34:35]
	v_mul_f64 v[36:37], v[36:37], v[40:41]
	ds_load_b128 v[9:12], v55 offset:14464
	ds_load_b128 v[32:35], v55 offset:12416
	v_mul_f64 v[38:39], v[38:39], v[44:45]
	s_waitcnt lgkmcnt(3)
	v_mul_f64 v[40:41], v[42:43], -v[3:4]
	v_mul_f64 v[48:49], v[42:43], v[1:2]
	s_waitcnt lgkmcnt(2)
	v_mul_f64 v[50:51], v[42:43], -v[30:31]
	v_mul_f64 v[52:53], v[42:43], v[28:29]
	v_mul_f64 v[44:45], v[46:47], -v[15:16]
	v_mul_f64 v[54:55], v[46:47], v[13:14]
	s_waitcnt lgkmcnt(1)
	v_mul_f64 v[56:57], v[46:47], -v[11:12]
	v_mul_f64 v[58:59], v[46:47], v[9:10]
	v_mul_f64 v[60:61], v[42:43], v[7:8]
	v_mul_f64 v[42:43], v[42:43], -v[5:6]
	s_waitcnt lgkmcnt(0)
	v_mul_f64 v[62:63], v[46:47], v[34:35]
	v_fma_f64 v[40:41], v[1:2], v[36:37], v[40:41]
	v_fma_f64 v[48:49], v[3:4], v[36:37], v[48:49]
	;; [unrolled: 1-line block ×4, first 2 shown]
	ds_load_b128 v[1:4], v27
	ds_load_b128 v[28:31], v24
	v_fma_f64 v[13:14], v[13:14], v[38:39], v[44:45]
	v_fma_f64 v[15:16], v[15:16], v[38:39], v[54:55]
	;; [unrolled: 1-line block ×4, first 2 shown]
	v_mul_f64 v[44:45], v[46:47], -v[32:33]
	v_fma_f64 v[5:6], -v[5:6], v[36:37], v[60:61]
	v_fma_f64 v[7:8], -v[7:8], v[36:37], v[42:43]
	s_waitcnt lgkmcnt(1)
	v_add_f64 v[40:41], v[1:2], -v[40:41]
	v_add_f64 v[3:4], v[3:4], -v[48:49]
	s_waitcnt lgkmcnt(0)
	v_add_f64 v[28:29], v[28:29], -v[50:51]
	v_add_f64 v[30:31], v[30:31], -v[52:53]
	v_fma_f64 v[1:2], -v[32:33], v[38:39], v[62:63]
	v_add_f64 v[13:14], v[40:41], -v[13:14]
	v_add_f64 v[15:16], v[3:4], -v[15:16]
	;; [unrolled: 1-line block ×4, first 2 shown]
	v_fma_f64 v[3:4], -v[34:35], v[38:39], v[44:45]
.LBB69_18:
	s_or_b32 exec_lo, exec_lo, s2
	s_barrier
	buffer_gl0_inv
	s_and_saveexec_b32 s1, s0
	s_cbranch_execz .LBB69_20
; %bb.19:
	ds_store_b128 v27, v[13:16]
	ds_store_b128 v24, v[9:12]
	;; [unrolled: 1-line block ×4, first 2 shown]
.LBB69_20:
	s_or_b32 exec_lo, exec_lo, s1
	s_waitcnt lgkmcnt(0)
	s_barrier
	buffer_gl0_inv
	s_and_saveexec_b32 s2, s0
	s_cbranch_execz .LBB69_22
; %bb.21:
	v_max_u32_e32 v1, 16, v0
	v_min_u32_e32 v9, 47, v0
	s_delay_alu instid0(VALU_DEP_2) | instskip(NEXT) | instid1(VALU_DEP_2)
	v_lshlrev_b32_e32 v54, 4, v1
	v_lshlrev_b32_e32 v55, 4, v9
	ds_load_b128 v[1:4], v54 offset:11008
	ds_load_b128 v[5:8], v54 offset:9984
	;; [unrolled: 1-line block ×4, first 2 shown]
	s_waitcnt lgkmcnt(3)
	v_mul_f64 v[28:29], v[3:4], v[3:4]
	s_waitcnt lgkmcnt(1)
	v_mul_f64 v[30:31], v[11:12], v[11:12]
	s_delay_alu instid0(VALU_DEP_2) | instskip(NEXT) | instid1(VALU_DEP_2)
	v_fma_f64 v[36:37], v[1:2], v[1:2], v[28:29]
	v_fma_f64 v[38:39], v[9:10], v[9:10], v[30:31]
	s_delay_alu instid0(VALU_DEP_2) | instskip(NEXT) | instid1(VALU_DEP_2)
	v_div_scale_f64 v[28:29], null, v[36:37], v[36:37], 1.0
	v_div_scale_f64 v[40:41], null, v[38:39], v[38:39], 1.0
	v_div_scale_f64 v[44:45], vcc_lo, 1.0, v[36:37], 1.0
	v_div_scale_f64 v[48:49], s1, 1.0, v[38:39], 1.0
	s_delay_alu instid0(VALU_DEP_4) | instskip(NEXT) | instid1(VALU_DEP_3)
	v_rcp_f64_e32 v[30:31], v[28:29]
	v_rcp_f64_e32 v[32:33], v[40:41]
	s_waitcnt_depctr 0xfff
	v_fma_f64 v[34:35], -v[28:29], v[30:31], 1.0
	v_fma_f64 v[42:43], -v[40:41], v[32:33], 1.0
	s_delay_alu instid0(VALU_DEP_2) | instskip(NEXT) | instid1(VALU_DEP_2)
	v_fma_f64 v[30:31], v[30:31], v[34:35], v[30:31]
	v_fma_f64 v[32:33], v[32:33], v[42:43], v[32:33]
	s_delay_alu instid0(VALU_DEP_2) | instskip(NEXT) | instid1(VALU_DEP_2)
	v_fma_f64 v[34:35], -v[28:29], v[30:31], 1.0
	v_fma_f64 v[42:43], -v[40:41], v[32:33], 1.0
	s_delay_alu instid0(VALU_DEP_2) | instskip(NEXT) | instid1(VALU_DEP_2)
	v_fma_f64 v[46:47], v[30:31], v[34:35], v[30:31]
	v_fma_f64 v[42:43], v[32:33], v[42:43], v[32:33]
	s_delay_alu instid0(VALU_DEP_2) | instskip(NEXT) | instid1(VALU_DEP_2)
	v_mul_f64 v[50:51], v[44:45], v[46:47]
	v_mul_f64 v[52:53], v[48:49], v[42:43]
	s_delay_alu instid0(VALU_DEP_2)
	v_fma_f64 v[44:45], -v[28:29], v[50:51], v[44:45]
	ds_load_b128 v[28:31], v26
	ds_load_b128 v[32:35], v25
	v_fma_f64 v[40:41], -v[40:41], v[52:53], v[48:49]
	s_waitcnt lgkmcnt(1)
	v_mul_f64 v[48:49], v[3:4], -v[28:29]
	v_mul_f64 v[3:4], v[3:4], v[30:31]
	v_div_fmas_f64 v[44:45], v[44:45], v[46:47], v[50:51]
	s_mov_b32 vcc_lo, s1
	s_waitcnt lgkmcnt(0)
	v_mul_f64 v[46:47], v[11:12], -v[32:33]
	v_div_fmas_f64 v[40:41], v[40:41], v[42:43], v[52:53]
	v_mul_f64 v[11:12], v[11:12], v[34:35]
	v_fma_f64 v[30:31], v[30:31], v[1:2], v[48:49]
	v_div_fixup_f64 v[36:37], v[44:45], v[36:37], 1.0
	v_fma_f64 v[34:35], v[34:35], v[9:10], v[46:47]
	v_div_fixup_f64 v[38:39], v[40:41], v[38:39], 1.0
	v_fma_f64 v[40:41], v[28:29], v[1:2], v[3:4]
	v_fma_f64 v[44:45], v[32:33], v[9:10], v[11:12]
	v_mul_f64 v[42:43], v[36:37], v[30:31]
	ds_load_b128 v[1:4], v54 offset:12032
	ds_load_b128 v[28:31], v54 offset:14080
	v_mul_f64 v[46:47], v[38:39], v[34:35]
	v_mul_f64 v[36:37], v[36:37], v[40:41]
	ds_load_b128 v[9:12], v55 offset:14592
	ds_load_b128 v[32:35], v55 offset:12544
	v_mul_f64 v[38:39], v[38:39], v[44:45]
	s_waitcnt lgkmcnt(3)
	v_mul_f64 v[40:41], v[42:43], -v[3:4]
	v_mul_f64 v[48:49], v[42:43], v[1:2]
	s_waitcnt lgkmcnt(2)
	v_mul_f64 v[50:51], v[42:43], -v[30:31]
	v_mul_f64 v[52:53], v[42:43], v[28:29]
	v_mul_f64 v[44:45], v[46:47], -v[15:16]
	v_mul_f64 v[54:55], v[46:47], v[13:14]
	s_waitcnt lgkmcnt(1)
	v_mul_f64 v[56:57], v[46:47], -v[11:12]
	v_mul_f64 v[58:59], v[46:47], v[9:10]
	v_mul_f64 v[60:61], v[42:43], v[7:8]
	v_mul_f64 v[42:43], v[42:43], -v[5:6]
	s_waitcnt lgkmcnt(0)
	v_mul_f64 v[62:63], v[46:47], v[34:35]
	v_fma_f64 v[40:41], v[1:2], v[36:37], v[40:41]
	v_fma_f64 v[48:49], v[3:4], v[36:37], v[48:49]
	;; [unrolled: 1-line block ×4, first 2 shown]
	ds_load_b128 v[1:4], v27
	ds_load_b128 v[28:31], v24
	v_fma_f64 v[13:14], v[13:14], v[38:39], v[44:45]
	v_fma_f64 v[15:16], v[15:16], v[38:39], v[54:55]
	;; [unrolled: 1-line block ×4, first 2 shown]
	v_mul_f64 v[44:45], v[46:47], -v[32:33]
	v_fma_f64 v[5:6], -v[5:6], v[36:37], v[60:61]
	v_fma_f64 v[7:8], -v[7:8], v[36:37], v[42:43]
	s_waitcnt lgkmcnt(1)
	v_add_f64 v[40:41], v[1:2], -v[40:41]
	v_add_f64 v[3:4], v[3:4], -v[48:49]
	s_waitcnt lgkmcnt(0)
	v_add_f64 v[28:29], v[28:29], -v[50:51]
	v_add_f64 v[30:31], v[30:31], -v[52:53]
	v_fma_f64 v[1:2], -v[32:33], v[38:39], v[62:63]
	v_add_f64 v[13:14], v[40:41], -v[13:14]
	v_add_f64 v[15:16], v[3:4], -v[15:16]
	;; [unrolled: 1-line block ×4, first 2 shown]
	v_fma_f64 v[3:4], -v[34:35], v[38:39], v[44:45]
.LBB69_22:
	s_or_b32 exec_lo, exec_lo, s2
	s_barrier
	buffer_gl0_inv
	s_and_saveexec_b32 s1, s0
	s_cbranch_execz .LBB69_24
; %bb.23:
	ds_store_b128 v27, v[13:16]
	ds_store_b128 v24, v[9:12]
	;; [unrolled: 1-line block ×4, first 2 shown]
.LBB69_24:
	s_or_b32 exec_lo, exec_lo, s1
	s_delay_alu instid0(SALU_CYCLE_1)
	s_mov_b32 s1, exec_lo
	s_waitcnt lgkmcnt(0)
	s_barrier
	buffer_gl0_inv
	v_cmpx_gt_u32_e32 32, v0
	s_cbranch_execz .LBB69_26
; %bb.25:
	ds_load_b128 v[1:4], v27
	ds_load_b128 v[5:8], v27 offset:512
	ds_load_b128 v[9:12], v26 offset:512
	ds_load_b128 v[13:16], v25
	s_waitcnt lgkmcnt(2)
	v_mul_f64 v[25:26], v[3:4], v[5:6]
	v_mul_f64 v[29:30], v[3:4], -v[7:8]
	s_waitcnt lgkmcnt(0)
	v_mul_f64 v[27:28], v[11:12], v[13:14]
	v_mul_f64 v[31:32], v[11:12], -v[15:16]
	s_delay_alu instid0(VALU_DEP_4) | instskip(NEXT) | instid1(VALU_DEP_4)
	v_fma_f64 v[25:26], v[7:8], v[1:2], v[25:26]
	v_fma_f64 v[29:30], v[5:6], v[1:2], v[29:30]
	s_delay_alu instid0(VALU_DEP_4) | instskip(NEXT) | instid1(VALU_DEP_4)
	v_fma_f64 v[27:28], v[15:16], v[9:10], v[27:28]
	v_fma_f64 v[31:32], v[13:14], v[9:10], v[31:32]
	s_delay_alu instid0(VALU_DEP_2) | instskip(NEXT) | instid1(VALU_DEP_2)
	v_add_f64 v[33:34], v[25:26], -v[27:28]
	v_add_f64 v[35:36], v[29:30], -v[31:32]
	s_delay_alu instid0(VALU_DEP_2) | instskip(NEXT) | instid1(VALU_DEP_1)
	v_mul_f64 v[25:26], v[33:34], v[33:34]
	v_fma_f64 v[37:38], v[35:36], v[35:36], v[25:26]
	s_delay_alu instid0(VALU_DEP_1) | instskip(SKIP_1) | instid1(VALU_DEP_2)
	v_div_scale_f64 v[25:26], null, v[37:38], v[37:38], 1.0
	v_div_scale_f64 v[31:32], vcc_lo, 1.0, v[37:38], 1.0
	v_rcp_f64_e32 v[27:28], v[25:26]
	s_waitcnt_depctr 0xfff
	v_fma_f64 v[29:30], -v[25:26], v[27:28], 1.0
	s_delay_alu instid0(VALU_DEP_1) | instskip(NEXT) | instid1(VALU_DEP_1)
	v_fma_f64 v[27:28], v[27:28], v[29:30], v[27:28]
	v_fma_f64 v[29:30], -v[25:26], v[27:28], 1.0
	s_delay_alu instid0(VALU_DEP_1) | instskip(NEXT) | instid1(VALU_DEP_1)
	v_fma_f64 v[39:40], v[27:28], v[29:30], v[27:28]
	v_mul_f64 v[41:42], v[31:32], v[39:40]
	s_delay_alu instid0(VALU_DEP_1)
	v_fma_f64 v[43:44], -v[25:26], v[41:42], v[31:32]
	ds_load_b128 v[25:28], v24
	ds_load_b128 v[29:32], v24 offset:512
	s_waitcnt lgkmcnt(1)
	v_mul_f64 v[45:46], v[27:28], -v[7:8]
	v_mul_f64 v[47:48], v[5:6], v[27:28]
	s_waitcnt lgkmcnt(0)
	v_mul_f64 v[49:50], v[31:32], -v[15:16]
	v_mul_f64 v[51:52], v[13:14], v[31:32]
	v_mul_f64 v[53:54], v[3:4], -v[31:32]
	v_mul_f64 v[3:4], v[3:4], v[29:30]
	v_div_fmas_f64 v[39:40], v[43:44], v[39:40], v[41:42]
	v_mul_f64 v[41:42], v[11:12], v[25:26]
	v_mul_f64 v[11:12], v[11:12], -v[27:28]
	v_fma_f64 v[43:44], v[35:36], 0, -v[33:34]
	v_fma_f64 v[5:6], v[5:6], v[25:26], v[45:46]
	v_fma_f64 v[7:8], v[7:8], v[25:26], v[47:48]
	;; [unrolled: 1-line block ×6, first 2 shown]
	v_div_fixup_f64 v[37:38], v[39:40], v[37:38], 1.0
	v_fma_f64 v[3:4], v[27:28], v[9:10], v[41:42]
	v_fma_f64 v[9:10], v[25:26], v[9:10], v[11:12]
	;; [unrolled: 1-line block ×3, first 2 shown]
	v_add_f64 v[5:6], v[5:6], -v[13:14]
	v_add_f64 v[7:8], v[7:8], -v[15:16]
	v_mul_f64 v[15:16], v[43:44], v[37:38]
	v_add_f64 v[13:14], v[1:2], -v[3:4]
	v_add_f64 v[9:10], v[29:30], -v[9:10]
	v_mul_f64 v[11:12], v[11:12], v[37:38]
	s_delay_alu instid0(VALU_DEP_4) | instskip(SKIP_3) | instid1(VALU_DEP_4)
	v_mul_f64 v[1:2], v[15:16], -v[7:8]
	v_mul_f64 v[3:4], v[15:16], v[5:6]
	v_mul_f64 v[24:25], v[15:16], -v[13:14]
	v_mul_f64 v[15:16], v[15:16], v[9:10]
	v_fma_f64 v[1:2], v[5:6], v[11:12], v[1:2]
	s_delay_alu instid0(VALU_DEP_4) | instskip(NEXT) | instid1(VALU_DEP_4)
	v_fma_f64 v[3:4], v[7:8], v[11:12], v[3:4]
	v_fma_f64 v[5:6], v[9:10], v[11:12], v[24:25]
	s_delay_alu instid0(VALU_DEP_4)
	v_fma_f64 v[7:8], v[13:14], v[11:12], v[15:16]
	ds_store_b128 v21, v[1:4] offset:13312
	ds_store_b128 v21, v[5:8] offset:13824
.LBB69_26:
	s_or_b32 exec_lo, exec_lo, s1
	s_waitcnt lgkmcnt(0)
	s_barrier
	buffer_gl0_inv
	s_and_saveexec_b32 s1, s0
	s_cbranch_execz .LBB69_28
; %bb.27:
	ds_load_b128 v[1:4], v21 offset:13312
	s_waitcnt lgkmcnt(0)
	ds_store_b128 v23, v[1:4] offset:6160
.LBB69_28:
	s_or_b32 exec_lo, exec_lo, s1
	s_waitcnt lgkmcnt(0)
	s_barrier
	buffer_gl0_inv
	s_and_saveexec_b32 s1, s0
	s_cbranch_execz .LBB69_34
; %bb.29:
	v_lshlrev_b32_e32 v4, 4, v22
	s_mov_b32 s0, exec_lo
                                        ; implicit-def: $vgpr2_vgpr3
	v_cmpx_ne_u32_e32 0, v0
	s_xor_b32 s0, exec_lo, s0
	s_cbranch_execz .LBB69_31
; %bb.30:
	ds_load_b128 v[0:3], v4 offset:2048
	s_waitcnt lgkmcnt(0)
	v_mul_f64 v[5:6], v[2:3], v[2:3]
	s_delay_alu instid0(VALU_DEP_1) | instskip(NEXT) | instid1(VALU_DEP_1)
	v_fma_f64 v[26:27], v[0:1], v[0:1], v[5:6]
	v_div_scale_f64 v[28:29], null, v[26:27], v[26:27], 1.0
	v_div_scale_f64 v[38:39], vcc_lo, 1.0, v[26:27], 1.0
	s_delay_alu instid0(VALU_DEP_2) | instskip(SKIP_2) | instid1(VALU_DEP_1)
	v_rcp_f64_e32 v[5:6], v[28:29]
	s_waitcnt_depctr 0xfff
	v_fma_f64 v[7:8], -v[28:29], v[5:6], 1.0
	v_fma_f64 v[30:31], v[5:6], v[7:8], v[5:6]
	ds_load_b128 v[5:8], v4
	ds_load_b128 v[9:12], v4 offset:6128
	ds_load_b128 v[13:16], v4 offset:4096
	;; [unrolled: 1-line block ×3, first 2 shown]
	s_waitcnt lgkmcnt(2)
	v_mul_f64 v[32:33], v[11:12], v[5:6]
	v_mul_f64 v[11:12], v[11:12], -v[7:8]
	v_fma_f64 v[34:35], -v[28:29], v[30:31], 1.0
	s_delay_alu instid0(VALU_DEP_3) | instskip(NEXT) | instid1(VALU_DEP_3)
	v_fma_f64 v[32:33], v[7:8], v[9:10], v[32:33]
	v_fma_f64 v[9:10], v[5:6], v[9:10], v[11:12]
	ds_load_b128 v[5:8], v4 offset:8192
	s_waitcnt lgkmcnt(1)
	v_mul_f64 v[36:37], v[24:25], -v[15:16]
	v_mul_f64 v[24:25], v[24:25], v[13:14]
	v_fma_f64 v[30:31], v[30:31], v[34:35], v[30:31]
	s_waitcnt lgkmcnt(0)
	v_add_f64 v[7:8], v[7:8], -v[32:33]
	v_add_f64 v[5:6], v[5:6], -v[9:10]
	v_fma_f64 v[13:14], v[13:14], v[22:23], v[36:37]
	v_fma_f64 v[11:12], v[15:16], v[22:23], v[24:25]
	v_mul_f64 v[15:16], v[38:39], v[30:31]
	s_delay_alu instid0(VALU_DEP_3) | instskip(NEXT) | instid1(VALU_DEP_3)
	v_add_f64 v[5:6], v[5:6], -v[13:14]
	v_add_f64 v[7:8], v[7:8], -v[11:12]
	s_delay_alu instid0(VALU_DEP_3) | instskip(NEXT) | instid1(VALU_DEP_2)
	v_fma_f64 v[9:10], -v[28:29], v[15:16], v[38:39]
	v_mul_f64 v[11:12], v[7:8], v[2:3]
	s_delay_alu instid0(VALU_DEP_4) | instskip(NEXT) | instid1(VALU_DEP_3)
	v_mul_f64 v[2:3], v[2:3], -v[5:6]
	v_div_fmas_f64 v[9:10], v[9:10], v[30:31], v[15:16]
	s_delay_alu instid0(VALU_DEP_3) | instskip(NEXT) | instid1(VALU_DEP_3)
	v_fma_f64 v[5:6], v[5:6], v[0:1], v[11:12]
	v_fma_f64 v[2:3], v[7:8], v[0:1], v[2:3]
	s_delay_alu instid0(VALU_DEP_3) | instskip(NEXT) | instid1(VALU_DEP_1)
	v_div_fixup_f64 v[9:10], v[9:10], v[26:27], 1.0
	v_mul_f64 v[0:1], v[5:6], v[9:10]
	s_delay_alu instid0(VALU_DEP_3)
	v_mul_f64 v[2:3], v[9:10], v[2:3]
.LBB69_31:
	s_and_not1_saveexec_b32 s0, s0
	s_cbranch_execz .LBB69_33
; %bb.32:
	ds_load_b128 v[0:3], v4 offset:2048
	s_waitcnt lgkmcnt(0)
	v_mul_f64 v[5:6], v[2:3], v[2:3]
	s_delay_alu instid0(VALU_DEP_1) | instskip(NEXT) | instid1(VALU_DEP_1)
	v_fma_f64 v[22:23], v[0:1], v[0:1], v[5:6]
	v_div_scale_f64 v[24:25], null, v[22:23], v[22:23], 1.0
	v_div_scale_f64 v[32:33], vcc_lo, 1.0, v[22:23], 1.0
	s_delay_alu instid0(VALU_DEP_2) | instskip(SKIP_2) | instid1(VALU_DEP_1)
	v_rcp_f64_e32 v[5:6], v[24:25]
	s_waitcnt_depctr 0xfff
	v_fma_f64 v[7:8], -v[24:25], v[5:6], 1.0
	v_fma_f64 v[26:27], v[5:6], v[7:8], v[5:6]
	ds_load_b128 v[5:8], v4 offset:4096
	ds_load_b128 v[9:12], v4 offset:6160
	;; [unrolled: 1-line block ×3, first 2 shown]
	s_waitcnt lgkmcnt(1)
	v_mul_f64 v[30:31], v[11:12], v[5:6]
	v_mul_f64 v[11:12], v[11:12], -v[7:8]
	v_fma_f64 v[28:29], -v[24:25], v[26:27], 1.0
	s_delay_alu instid0(VALU_DEP_3) | instskip(NEXT) | instid1(VALU_DEP_3)
	v_fma_f64 v[7:8], v[7:8], v[9:10], v[30:31]
	v_fma_f64 v[5:6], v[5:6], v[9:10], v[11:12]
	s_delay_alu instid0(VALU_DEP_3) | instskip(SKIP_1) | instid1(VALU_DEP_3)
	v_fma_f64 v[26:27], v[26:27], v[28:29], v[26:27]
	s_waitcnt lgkmcnt(0)
	v_add_f64 v[7:8], v[15:16], -v[7:8]
	s_delay_alu instid0(VALU_DEP_3) | instskip(NEXT) | instid1(VALU_DEP_3)
	v_add_f64 v[5:6], v[13:14], -v[5:6]
	v_mul_f64 v[28:29], v[32:33], v[26:27]
	s_delay_alu instid0(VALU_DEP_3) | instskip(NEXT) | instid1(VALU_DEP_3)
	v_mul_f64 v[11:12], v[7:8], v[2:3]
	v_mul_f64 v[2:3], v[2:3], -v[5:6]
	s_delay_alu instid0(VALU_DEP_3) | instskip(NEXT) | instid1(VALU_DEP_3)
	v_fma_f64 v[9:10], -v[24:25], v[28:29], v[32:33]
	v_fma_f64 v[5:6], v[5:6], v[0:1], v[11:12]
	s_delay_alu instid0(VALU_DEP_3) | instskip(NEXT) | instid1(VALU_DEP_3)
	v_fma_f64 v[2:3], v[7:8], v[0:1], v[2:3]
	v_div_fmas_f64 v[9:10], v[9:10], v[26:27], v[28:29]
	s_delay_alu instid0(VALU_DEP_1) | instskip(NEXT) | instid1(VALU_DEP_1)
	v_div_fixup_f64 v[9:10], v[9:10], v[22:23], 1.0
	v_mul_f64 v[0:1], v[5:6], v[9:10]
	s_delay_alu instid0(VALU_DEP_4)
	v_mul_f64 v[2:3], v[2:3], v[9:10]
.LBB69_33:
	s_or_b32 exec_lo, exec_lo, s0
	ds_store_b128 v4, v[0:3] offset:6144
.LBB69_34:
	s_or_b32 exec_lo, exec_lo, s1
	v_or_b32_e32 v0, 0x1800, v21
	v_or_b32_e32 v4, 0x1c00, v21
	s_waitcnt lgkmcnt(0)
	s_barrier
	buffer_gl0_inv
	ds_load_2addr_b64 v[0:3], v0 offset1:1
	ds_load_2addr_b64 v[4:7], v4 offset1:1
	s_waitcnt lgkmcnt(1)
	global_store_b128 v[17:18], v[0:3], off
	s_waitcnt lgkmcnt(0)
	global_store_b128 v[19:20], v[4:7], off
	s_nop 0
	s_sendmsg sendmsg(MSG_DEALLOC_VGPRS)
	s_endpgm
	.section	.rodata,"a",@progbits
	.p2align	6, 0x0
	.amdhsa_kernel _ZN9rocsparseL51gtsv_nopivot_strided_batch_crpcr_pow2_shared_kernelILj64ELj64E21rocsparse_complex_numIdEEEviiiPKT1_S5_S5_PS3_
		.amdhsa_group_segment_fixed_size 15360
		.amdhsa_private_segment_fixed_size 0
		.amdhsa_kernarg_size 48
		.amdhsa_user_sgpr_count 15
		.amdhsa_user_sgpr_dispatch_ptr 0
		.amdhsa_user_sgpr_queue_ptr 0
		.amdhsa_user_sgpr_kernarg_segment_ptr 1
		.amdhsa_user_sgpr_dispatch_id 0
		.amdhsa_user_sgpr_private_segment_size 0
		.amdhsa_wavefront_size32 1
		.amdhsa_uses_dynamic_stack 0
		.amdhsa_enable_private_segment 0
		.amdhsa_system_sgpr_workgroup_id_x 1
		.amdhsa_system_sgpr_workgroup_id_y 0
		.amdhsa_system_sgpr_workgroup_id_z 0
		.amdhsa_system_sgpr_workgroup_info 0
		.amdhsa_system_vgpr_workitem_id 0
		.amdhsa_next_free_vgpr 64
		.amdhsa_next_free_sgpr 16
		.amdhsa_reserve_vcc 1
		.amdhsa_float_round_mode_32 0
		.amdhsa_float_round_mode_16_64 0
		.amdhsa_float_denorm_mode_32 3
		.amdhsa_float_denorm_mode_16_64 3
		.amdhsa_dx10_clamp 1
		.amdhsa_ieee_mode 1
		.amdhsa_fp16_overflow 0
		.amdhsa_workgroup_processor_mode 1
		.amdhsa_memory_ordered 1
		.amdhsa_forward_progress 0
		.amdhsa_shared_vgpr_count 0
		.amdhsa_exception_fp_ieee_invalid_op 0
		.amdhsa_exception_fp_denorm_src 0
		.amdhsa_exception_fp_ieee_div_zero 0
		.amdhsa_exception_fp_ieee_overflow 0
		.amdhsa_exception_fp_ieee_underflow 0
		.amdhsa_exception_fp_ieee_inexact 0
		.amdhsa_exception_int_div_zero 0
	.end_amdhsa_kernel
	.section	.text._ZN9rocsparseL51gtsv_nopivot_strided_batch_crpcr_pow2_shared_kernelILj64ELj64E21rocsparse_complex_numIdEEEviiiPKT1_S5_S5_PS3_,"axG",@progbits,_ZN9rocsparseL51gtsv_nopivot_strided_batch_crpcr_pow2_shared_kernelILj64ELj64E21rocsparse_complex_numIdEEEviiiPKT1_S5_S5_PS3_,comdat
.Lfunc_end69:
	.size	_ZN9rocsparseL51gtsv_nopivot_strided_batch_crpcr_pow2_shared_kernelILj64ELj64E21rocsparse_complex_numIdEEEviiiPKT1_S5_S5_PS3_, .Lfunc_end69-_ZN9rocsparseL51gtsv_nopivot_strided_batch_crpcr_pow2_shared_kernelILj64ELj64E21rocsparse_complex_numIdEEEviiiPKT1_S5_S5_PS3_
                                        ; -- End function
	.section	.AMDGPU.csdata,"",@progbits
; Kernel info:
; codeLenInByte = 6948
; NumSgprs: 18
; NumVgprs: 64
; ScratchSize: 0
; MemoryBound: 0
; FloatMode: 240
; IeeeMode: 1
; LDSByteSize: 15360 bytes/workgroup (compile time only)
; SGPRBlocks: 2
; VGPRBlocks: 7
; NumSGPRsForWavesPerEU: 18
; NumVGPRsForWavesPerEU: 64
; Occupancy: 4
; WaveLimiterHint : 0
; COMPUTE_PGM_RSRC2:SCRATCH_EN: 0
; COMPUTE_PGM_RSRC2:USER_SGPR: 15
; COMPUTE_PGM_RSRC2:TRAP_HANDLER: 0
; COMPUTE_PGM_RSRC2:TGID_X_EN: 1
; COMPUTE_PGM_RSRC2:TGID_Y_EN: 0
; COMPUTE_PGM_RSRC2:TGID_Z_EN: 0
; COMPUTE_PGM_RSRC2:TIDIG_COMP_CNT: 0
	.section	.text._ZN9rocsparseL51gtsv_nopivot_strided_batch_crpcr_pow2_shared_kernelILj128ELj64E21rocsparse_complex_numIdEEEviiiPKT1_S5_S5_PS3_,"axG",@progbits,_ZN9rocsparseL51gtsv_nopivot_strided_batch_crpcr_pow2_shared_kernelILj128ELj64E21rocsparse_complex_numIdEEEviiiPKT1_S5_S5_PS3_,comdat
	.globl	_ZN9rocsparseL51gtsv_nopivot_strided_batch_crpcr_pow2_shared_kernelILj128ELj64E21rocsparse_complex_numIdEEEviiiPKT1_S5_S5_PS3_ ; -- Begin function _ZN9rocsparseL51gtsv_nopivot_strided_batch_crpcr_pow2_shared_kernelILj128ELj64E21rocsparse_complex_numIdEEEviiiPKT1_S5_S5_PS3_
	.p2align	8
	.type	_ZN9rocsparseL51gtsv_nopivot_strided_batch_crpcr_pow2_shared_kernelILj128ELj64E21rocsparse_complex_numIdEEEviiiPKT1_S5_S5_PS3_,@function
_ZN9rocsparseL51gtsv_nopivot_strided_batch_crpcr_pow2_shared_kernelILj128ELj64E21rocsparse_complex_numIdEEEviiiPKT1_S5_S5_PS3_: ; @_ZN9rocsparseL51gtsv_nopivot_strided_batch_crpcr_pow2_shared_kernelILj128ELj64E21rocsparse_complex_numIdEEEviiiPKT1_S5_S5_PS3_
; %bb.0:
	s_clause 0x1
	s_load_b32 s8, s[0:1], 0x8
	s_load_b256 s[0:7], s[0:1], 0x10
	s_waitcnt lgkmcnt(0)
	v_mad_u64_u32 v[1:2], null, s15, s8, v[0:1]
	s_delay_alu instid0(VALU_DEP_1) | instskip(SKIP_1) | instid1(VALU_DEP_2)
	v_dual_mov_b32 v4, 0 :: v_dual_add_nc_u32 v3, 0x80, v1
	v_ashrrev_i32_e32 v2, 31, v1
	v_lshlrev_b64 v[3:4], 4, v[3:4]
	s_delay_alu instid0(VALU_DEP_2) | instskip(NEXT) | instid1(VALU_DEP_1)
	v_lshlrev_b64 v[1:2], 4, v[1:2]
	v_add_co_u32 v5, vcc_lo, s0, v1
	s_delay_alu instid0(VALU_DEP_2) | instskip(NEXT) | instid1(VALU_DEP_4)
	v_add_co_ci_u32_e32 v6, vcc_lo, s1, v2, vcc_lo
	v_add_co_u32 v8, vcc_lo, s0, v3
	v_add_co_ci_u32_e32 v9, vcc_lo, s1, v4, vcc_lo
	v_add_co_u32 v12, vcc_lo, s2, v1
	;; [unrolled: 2-line block ×7, first 2 shown]
	v_add_co_ci_u32_e32 v20, vcc_lo, s7, v4, vcc_lo
	s_clause 0x1
	global_load_b128 v[4:7], v[5:6], off
	global_load_b128 v[8:11], v[8:9], off
	s_clause 0x1
	global_load_b128 v[12:15], v[12:13], off
	global_load_b128 v[22:25], v[21:22], off
	;; [unrolled: 3-line block ×4, first 2 shown]
	v_lshlrev_b32_e32 v21, 4, v0
	v_add_nc_u32_e32 v3, 1, v0
	v_cmp_gt_u32_e64 s0, 0x80, v0
	s_delay_alu instid0(VALU_DEP_3)
	v_or_b32_e32 v1, 0x800, v21
	v_or_b32_e32 v2, 0x1000, v21
	;; [unrolled: 1-line block ×7, first 2 shown]
	s_waitcnt vmcnt(7)
	ds_store_2addr_b64 v21, v[4:5], v[6:7] offset1:1
	s_waitcnt vmcnt(6)
	ds_store_2addr_b64 v1, v[8:9], v[10:11] offset1:1
	;; [unrolled: 2-line block ×8, first 2 shown]
	s_waitcnt lgkmcnt(0)
	s_barrier
	buffer_gl0_inv
	s_and_saveexec_b32 s2, s0
	s_cbranch_execz .LBB70_2
; %bb.1:
	v_lshlrev_b32_e32 v16, 5, v3
	v_lshlrev_b32_e32 v12, 1, v3
	ds_load_b128 v[4:7], v16 offset:4064
	ds_load_b128 v[8:11], v16 offset:4080
	v_min_u32_e32 v12, 0xff, v12
	v_add_nc_u32_e32 v64, -16, v16
	s_delay_alu instid0(VALU_DEP_2)
	v_lshlrev_b32_e32 v58, 4, v12
	ds_load_b128 v[12:15], v58 offset:4096
	ds_load_b128 v[22:25], v58
	s_waitcnt lgkmcnt(3)
	v_mul_f64 v[1:2], v[6:7], v[6:7]
	s_waitcnt lgkmcnt(1)
	v_mul_f64 v[26:27], v[14:15], v[14:15]
	s_delay_alu instid0(VALU_DEP_2) | instskip(NEXT) | instid1(VALU_DEP_2)
	v_fma_f64 v[1:2], v[4:5], v[4:5], v[1:2]
	v_fma_f64 v[42:43], v[12:13], v[12:13], v[26:27]
	s_delay_alu instid0(VALU_DEP_2) | instskip(SKIP_1) | instid1(VALU_DEP_3)
	v_div_scale_f64 v[26:27], null, v[1:2], v[1:2], 1.0
	v_div_scale_f64 v[38:39], vcc_lo, 1.0, v[1:2], 1.0
	v_div_scale_f64 v[34:35], null, v[42:43], v[42:43], 1.0
	v_div_scale_f64 v[44:45], s1, 1.0, v[42:43], 1.0
	s_delay_alu instid0(VALU_DEP_4) | instskip(NEXT) | instid1(VALU_DEP_2)
	v_rcp_f64_e32 v[28:29], v[26:27]
	v_rcp_f64_e32 v[30:31], v[34:35]
	s_waitcnt_depctr 0xfff
	v_fma_f64 v[32:33], -v[26:27], v[28:29], 1.0
	v_fma_f64 v[36:37], -v[34:35], v[30:31], 1.0
	s_delay_alu instid0(VALU_DEP_2) | instskip(NEXT) | instid1(VALU_DEP_2)
	v_fma_f64 v[28:29], v[28:29], v[32:33], v[28:29]
	v_fma_f64 v[30:31], v[30:31], v[36:37], v[30:31]
	s_delay_alu instid0(VALU_DEP_2) | instskip(NEXT) | instid1(VALU_DEP_2)
	v_fma_f64 v[32:33], -v[26:27], v[28:29], 1.0
	v_fma_f64 v[36:37], -v[34:35], v[30:31], 1.0
	s_delay_alu instid0(VALU_DEP_2) | instskip(NEXT) | instid1(VALU_DEP_2)
	v_fma_f64 v[40:41], v[28:29], v[32:33], v[28:29]
	v_fma_f64 v[46:47], v[30:31], v[36:37], v[30:31]
	v_subrev_nc_u32_e32 v30, 32, v16
	ds_load_b128 v[30:33], v30
	v_mul_f64 v[36:37], v[38:39], v[40:41]
	v_mul_f64 v[48:49], v[44:45], v[46:47]
	s_delay_alu instid0(VALU_DEP_2)
	v_fma_f64 v[38:39], -v[26:27], v[36:37], v[38:39]
	ds_load_b128 v[26:29], v64
	v_fma_f64 v[44:45], -v[34:35], v[48:49], v[44:45]
	s_waitcnt lgkmcnt(0)
	v_mul_f64 v[50:51], v[6:7], -v[26:27]
	v_mul_f64 v[6:7], v[6:7], v[28:29]
	v_div_fmas_f64 v[52:53], v[38:39], v[40:41], v[36:37]
	ds_load_b128 v[34:37], v16 offset:8176
	ds_load_b128 v[38:41], v16 offset:8160
	s_mov_b32 vcc_lo, s1
	v_div_fmas_f64 v[44:45], v[44:45], v[46:47], v[48:49]
	s_waitcnt lgkmcnt(1)
	v_mul_f64 v[54:55], v[14:15], -v[34:35]
	v_fma_f64 v[28:29], v[28:29], v[4:5], v[50:51]
	v_mul_f64 v[14:15], v[14:15], v[36:37]
	v_fma_f64 v[26:27], v[26:27], v[4:5], v[6:7]
	ds_load_b128 v[4:7], v16 offset:16352
	v_div_fixup_f64 v[1:2], v[52:53], v[1:2], 1.0
	v_div_fixup_f64 v[42:43], v[44:45], v[42:43], 1.0
	v_fma_f64 v[36:37], v[36:37], v[12:13], v[54:55]
	v_fma_f64 v[46:47], v[34:35], v[12:13], v[14:15]
	ds_load_b128 v[12:15], v16 offset:16368
	v_mul_f64 v[44:45], v[1:2], v[28:29]
	v_mul_f64 v[1:2], v[1:2], v[26:27]
	;; [unrolled: 1-line block ×3, first 2 shown]
	ds_load_b128 v[26:29], v58 offset:16384
	ds_load_b128 v[34:37], v58 offset:8192
	v_mul_f64 v[42:43], v[42:43], v[46:47]
	s_waitcnt lgkmcnt(3)
	v_mul_f64 v[50:51], v[44:45], -v[6:7]
	v_mul_f64 v[52:53], v[44:45], v[4:5]
	v_mul_f64 v[54:55], v[44:45], -v[40:41]
	v_mul_f64 v[56:57], v[44:45], v[38:39]
	s_waitcnt lgkmcnt(1)
	v_mul_f64 v[60:61], v[48:49], -v[28:29]
	v_mul_f64 v[62:63], v[48:49], v[26:27]
	v_mul_f64 v[46:47], v[48:49], -v[24:25]
	v_mul_f64 v[58:59], v[48:49], v[22:23]
	v_fma_f64 v[4:5], v[4:5], v[1:2], v[50:51]
	v_fma_f64 v[6:7], v[6:7], v[1:2], v[52:53]
	;; [unrolled: 1-line block ×4, first 2 shown]
	v_mul_f64 v[50:51], v[44:45], v[32:33]
	v_mul_f64 v[44:45], v[44:45], -v[30:31]
	s_waitcnt lgkmcnt(0)
	v_mul_f64 v[52:53], v[48:49], v[36:37]
	v_fma_f64 v[26:27], v[26:27], v[42:43], v[60:61]
	v_fma_f64 v[28:29], v[28:29], v[42:43], v[62:63]
	;; [unrolled: 1-line block ×4, first 2 shown]
	v_add_f64 v[12:13], v[12:13], -v[4:5]
	v_add_f64 v[14:15], v[14:15], -v[6:7]
	;; [unrolled: 1-line block ×4, first 2 shown]
	v_mul_f64 v[40:41], v[48:49], -v[34:35]
	v_fma_f64 v[4:5], -v[30:31], v[1:2], v[50:51]
	v_fma_f64 v[6:7], -v[32:33], v[1:2], v[44:45]
	;; [unrolled: 1-line block ×3, first 2 shown]
	v_add_f64 v[12:13], v[12:13], -v[26:27]
	v_add_f64 v[14:15], v[14:15], -v[28:29]
	;; [unrolled: 1-line block ×4, first 2 shown]
	v_fma_f64 v[10:11], -v[36:37], v[42:43], v[40:41]
	ds_store_b128 v16, v[12:15] offset:16368
	ds_store_b128 v64, v[4:7]
	ds_store_b128 v16, v[22:25] offset:4080
	ds_store_b128 v16, v[8:11] offset:8176
.LBB70_2:
	s_or_b32 exec_lo, exec_lo, s2
	v_cmp_gt_u32_e64 s1, 64, v0
	v_lshlrev_b32_e32 v22, 6, v3
	s_waitcnt lgkmcnt(0)
	s_barrier
	buffer_gl0_inv
	s_and_saveexec_b32 s3, s1
	s_cbranch_execz .LBB70_4
; %bb.3:
	ds_load_b128 v[4:7], v22 offset:4048
	ds_load_b128 v[8:11], v22 offset:4080
	v_lshl_or_b32 v12, v3, 2, 1
	v_add_nc_u32_e32 v65, -16, v22
	s_delay_alu instid0(VALU_DEP_2) | instskip(NEXT) | instid1(VALU_DEP_1)
	v_min_u32_e32 v12, 0xff, v12
	v_lshlrev_b32_e32 v16, 4, v12
	ds_load_b128 v[12:15], v16 offset:4096
	ds_load_b128 v[23:26], v16
	s_waitcnt lgkmcnt(3)
	v_mul_f64 v[1:2], v[6:7], v[6:7]
	s_waitcnt lgkmcnt(1)
	v_mul_f64 v[27:28], v[14:15], v[14:15]
	s_delay_alu instid0(VALU_DEP_2) | instskip(NEXT) | instid1(VALU_DEP_2)
	v_fma_f64 v[1:2], v[4:5], v[4:5], v[1:2]
	v_fma_f64 v[43:44], v[12:13], v[12:13], v[27:28]
	s_delay_alu instid0(VALU_DEP_2) | instskip(SKIP_1) | instid1(VALU_DEP_3)
	v_div_scale_f64 v[27:28], null, v[1:2], v[1:2], 1.0
	v_div_scale_f64 v[39:40], vcc_lo, 1.0, v[1:2], 1.0
	v_div_scale_f64 v[35:36], null, v[43:44], v[43:44], 1.0
	v_div_scale_f64 v[45:46], s2, 1.0, v[43:44], 1.0
	s_delay_alu instid0(VALU_DEP_4) | instskip(NEXT) | instid1(VALU_DEP_2)
	v_rcp_f64_e32 v[29:30], v[27:28]
	v_rcp_f64_e32 v[31:32], v[35:36]
	s_waitcnt_depctr 0xfff
	v_fma_f64 v[33:34], -v[27:28], v[29:30], 1.0
	v_fma_f64 v[37:38], -v[35:36], v[31:32], 1.0
	s_delay_alu instid0(VALU_DEP_2) | instskip(NEXT) | instid1(VALU_DEP_2)
	v_fma_f64 v[29:30], v[29:30], v[33:34], v[29:30]
	v_fma_f64 v[31:32], v[31:32], v[37:38], v[31:32]
	s_delay_alu instid0(VALU_DEP_2) | instskip(NEXT) | instid1(VALU_DEP_2)
	v_fma_f64 v[33:34], -v[27:28], v[29:30], 1.0
	v_fma_f64 v[37:38], -v[35:36], v[31:32], 1.0
	s_delay_alu instid0(VALU_DEP_2) | instskip(NEXT) | instid1(VALU_DEP_2)
	v_fma_f64 v[41:42], v[29:30], v[33:34], v[29:30]
	v_fma_f64 v[47:48], v[31:32], v[37:38], v[31:32]
	v_subrev_nc_u32_e32 v31, 48, v22
	ds_load_b128 v[31:34], v31
	v_mul_f64 v[37:38], v[39:40], v[41:42]
	v_mul_f64 v[49:50], v[45:46], v[47:48]
	s_delay_alu instid0(VALU_DEP_2)
	v_fma_f64 v[39:40], -v[27:28], v[37:38], v[39:40]
	ds_load_b128 v[27:30], v65
	v_fma_f64 v[45:46], -v[35:36], v[49:50], v[45:46]
	s_waitcnt lgkmcnt(0)
	v_mul_f64 v[51:52], v[6:7], -v[27:28]
	v_mul_f64 v[6:7], v[6:7], v[29:30]
	v_div_fmas_f64 v[53:54], v[39:40], v[41:42], v[37:38]
	ds_load_b128 v[35:38], v22 offset:8176
	ds_load_b128 v[39:42], v22 offset:8144
	s_mov_b32 vcc_lo, s2
	v_div_fmas_f64 v[45:46], v[45:46], v[47:48], v[49:50]
	s_waitcnt lgkmcnt(1)
	v_mul_f64 v[55:56], v[14:15], -v[35:36]
	v_fma_f64 v[29:30], v[29:30], v[4:5], v[51:52]
	v_mul_f64 v[14:15], v[14:15], v[37:38]
	v_fma_f64 v[27:28], v[27:28], v[4:5], v[6:7]
	ds_load_b128 v[4:7], v22 offset:16336
	v_div_fixup_f64 v[1:2], v[53:54], v[1:2], 1.0
	v_div_fixup_f64 v[43:44], v[45:46], v[43:44], 1.0
	v_fma_f64 v[37:38], v[37:38], v[12:13], v[55:56]
	v_fma_f64 v[47:48], v[35:36], v[12:13], v[14:15]
	ds_load_b128 v[12:15], v22 offset:16368
	v_mul_f64 v[45:46], v[1:2], v[29:30]
	v_mul_f64 v[1:2], v[1:2], v[27:28]
	;; [unrolled: 1-line block ×3, first 2 shown]
	ds_load_b128 v[27:30], v16 offset:16384
	ds_load_b128 v[35:38], v16 offset:8192
	v_mul_f64 v[43:44], v[43:44], v[47:48]
	s_waitcnt lgkmcnt(4)
	v_mul_f64 v[51:52], v[45:46], -v[41:42]
	v_mul_f64 v[53:54], v[45:46], v[39:40]
	s_waitcnt lgkmcnt(3)
	v_mul_f64 v[55:56], v[45:46], -v[6:7]
	v_mul_f64 v[57:58], v[45:46], v[4:5]
	v_mul_f64 v[47:48], v[49:50], -v[25:26]
	v_mul_f64 v[59:60], v[49:50], v[23:24]
	s_waitcnt lgkmcnt(1)
	v_mul_f64 v[61:62], v[49:50], -v[29:30]
	v_mul_f64 v[63:64], v[49:50], v[27:28]
	v_fma_f64 v[39:40], v[39:40], v[1:2], v[51:52]
	v_fma_f64 v[41:42], v[41:42], v[1:2], v[53:54]
	v_fma_f64 v[4:5], v[4:5], v[1:2], v[55:56]
	v_fma_f64 v[6:7], v[6:7], v[1:2], v[57:58]
	v_mul_f64 v[51:52], v[45:46], v[33:34]
	v_mul_f64 v[45:46], v[45:46], -v[31:32]
	s_waitcnt lgkmcnt(0)
	v_mul_f64 v[53:54], v[49:50], v[37:38]
	v_mul_f64 v[49:50], v[49:50], -v[35:36]
	v_fma_f64 v[23:24], v[23:24], v[43:44], v[47:48]
	v_fma_f64 v[25:26], v[25:26], v[43:44], v[59:60]
	;; [unrolled: 1-line block ×4, first 2 shown]
	v_add_f64 v[39:40], v[8:9], -v[39:40]
	v_add_f64 v[10:11], v[10:11], -v[41:42]
	;; [unrolled: 1-line block ×4, first 2 shown]
	v_fma_f64 v[4:5], -v[31:32], v[1:2], v[51:52]
	v_fma_f64 v[6:7], -v[33:34], v[1:2], v[45:46]
	;; [unrolled: 1-line block ×3, first 2 shown]
	v_add_f64 v[12:13], v[39:40], -v[23:24]
	v_add_f64 v[14:15], v[10:11], -v[25:26]
	;; [unrolled: 1-line block ×4, first 2 shown]
	v_fma_f64 v[10:11], -v[37:38], v[43:44], v[49:50]
	ds_store_b128 v22, v[12:15] offset:4080
	ds_store_b128 v65, v[4:7]
	ds_store_b128 v22, v[23:26] offset:16368
	ds_store_b128 v22, v[8:11] offset:8176
.LBB70_4:
	s_or_b32 exec_lo, exec_lo, s3
	s_waitcnt lgkmcnt(0)
	s_barrier
	buffer_gl0_inv
	s_and_saveexec_b32 s2, s1
	s_cbranch_execz .LBB70_6
; %bb.5:
	v_add_nc_u32_e32 v1, -16, v22
	ds_load_b128 v[4:7], v1
	ds_load_b128 v[8:11], v22 offset:4080
	ds_load_b128 v[12:15], v22 offset:8176
	;; [unrolled: 1-line block ×3, first 2 shown]
	s_waitcnt lgkmcnt(3)
	ds_store_b128 v21, v[4:7] offset:20480
	s_waitcnt lgkmcnt(3)
	ds_store_b128 v21, v[8:11] offset:21504
	;; [unrolled: 2-line block ×4, first 2 shown]
.LBB70_6:
	s_or_b32 exec_lo, exec_lo, s2
	v_or_b32_e32 v25, 0x5000, v21
	v_or_b32_e32 v24, 0x5800, v21
	v_add_nc_u32_e32 v26, 0x5400, v21
	v_or_b32_e32 v23, 0x6000, v21
	s_waitcnt lgkmcnt(0)
	s_barrier
	buffer_gl0_inv
                                        ; implicit-def: $vgpr9_vgpr10
                                        ; implicit-def: $vgpr1_vgpr2
                                        ; implicit-def: $vgpr13_vgpr14
                                        ; implicit-def: $vgpr5_vgpr6
	s_and_saveexec_b32 s3, s1
	s_cbranch_execz .LBB70_8
; %bb.7:
	v_max_u32_e32 v1, 1, v0
	v_min_u32_e32 v3, 63, v3
	s_delay_alu instid0(VALU_DEP_2) | instskip(NEXT) | instid1(VALU_DEP_2)
	v_lshlrev_b32_e32 v16, 4, v1
	v_lshlrev_b32_e32 v55, 4, v3
	ds_load_b128 v[4:7], v16 offset:21488
	ds_load_b128 v[8:11], v16 offset:20464
	;; [unrolled: 1-line block ×4, first 2 shown]
	s_waitcnt lgkmcnt(3)
	v_mul_f64 v[1:2], v[6:7], v[6:7]
	s_waitcnt lgkmcnt(1)
	v_mul_f64 v[31:32], v[14:15], v[14:15]
	s_delay_alu instid0(VALU_DEP_2) | instskip(NEXT) | instid1(VALU_DEP_2)
	v_fma_f64 v[1:2], v[4:5], v[4:5], v[1:2]
	v_fma_f64 v[39:40], v[12:13], v[12:13], v[31:32]
	s_delay_alu instid0(VALU_DEP_2) | instskip(NEXT) | instid1(VALU_DEP_2)
	v_div_scale_f64 v[31:32], null, v[1:2], v[1:2], 1.0
	v_div_scale_f64 v[41:42], null, v[39:40], v[39:40], 1.0
	v_div_scale_f64 v[45:46], vcc_lo, 1.0, v[1:2], 1.0
	v_div_scale_f64 v[49:50], s2, 1.0, v[39:40], 1.0
	s_delay_alu instid0(VALU_DEP_4) | instskip(NEXT) | instid1(VALU_DEP_3)
	v_rcp_f64_e32 v[33:34], v[31:32]
	v_rcp_f64_e32 v[35:36], v[41:42]
	s_waitcnt_depctr 0xfff
	v_fma_f64 v[37:38], -v[31:32], v[33:34], 1.0
	v_fma_f64 v[43:44], -v[41:42], v[35:36], 1.0
	s_delay_alu instid0(VALU_DEP_2) | instskip(NEXT) | instid1(VALU_DEP_2)
	v_fma_f64 v[33:34], v[33:34], v[37:38], v[33:34]
	v_fma_f64 v[35:36], v[35:36], v[43:44], v[35:36]
	s_delay_alu instid0(VALU_DEP_2) | instskip(NEXT) | instid1(VALU_DEP_2)
	v_fma_f64 v[37:38], -v[31:32], v[33:34], 1.0
	v_fma_f64 v[43:44], -v[41:42], v[35:36], 1.0
	s_delay_alu instid0(VALU_DEP_2) | instskip(NEXT) | instid1(VALU_DEP_2)
	v_fma_f64 v[47:48], v[33:34], v[37:38], v[33:34]
	v_fma_f64 v[43:44], v[35:36], v[43:44], v[35:36]
	s_delay_alu instid0(VALU_DEP_2) | instskip(NEXT) | instid1(VALU_DEP_2)
	v_mul_f64 v[51:52], v[45:46], v[47:48]
	v_mul_f64 v[53:54], v[49:50], v[43:44]
	s_delay_alu instid0(VALU_DEP_2)
	v_fma_f64 v[45:46], -v[31:32], v[51:52], v[45:46]
	ds_load_b128 v[31:34], v25
	ds_load_b128 v[35:38], v24
	v_fma_f64 v[41:42], -v[41:42], v[53:54], v[49:50]
	s_waitcnt lgkmcnt(1)
	v_mul_f64 v[49:50], v[6:7], -v[31:32]
	v_mul_f64 v[6:7], v[6:7], v[33:34]
	v_div_fmas_f64 v[45:46], v[45:46], v[47:48], v[51:52]
	s_mov_b32 vcc_lo, s2
	s_waitcnt lgkmcnt(0)
	v_mul_f64 v[47:48], v[14:15], -v[35:36]
	v_div_fmas_f64 v[41:42], v[41:42], v[43:44], v[53:54]
	v_mul_f64 v[14:15], v[14:15], v[37:38]
	v_fma_f64 v[33:34], v[33:34], v[4:5], v[49:50]
	v_fma_f64 v[5:6], v[31:32], v[4:5], v[6:7]
	v_div_fixup_f64 v[43:44], v[45:46], v[1:2], 1.0
	v_fma_f64 v[37:38], v[37:38], v[12:13], v[47:48]
	v_div_fixup_f64 v[39:40], v[41:42], v[39:40], 1.0
	v_fma_f64 v[45:46], v[35:36], v[12:13], v[14:15]
	s_delay_alu instid0(VALU_DEP_4)
	v_mul_f64 v[41:42], v[43:44], v[33:34]
	ds_load_b128 v[1:4], v16 offset:22512
	ds_load_b128 v[31:34], v16 offset:24560
	v_mul_f64 v[43:44], v[43:44], v[5:6]
	v_mul_f64 v[47:48], v[39:40], v[37:38]
	ds_load_b128 v[12:15], v55 offset:24576
	ds_load_b128 v[35:38], v55 offset:22528
	v_mul_f64 v[39:40], v[39:40], v[45:46]
	s_waitcnt lgkmcnt(3)
	v_mul_f64 v[5:6], v[41:42], -v[3:4]
	v_mul_f64 v[49:50], v[41:42], v[1:2]
	s_waitcnt lgkmcnt(2)
	v_mul_f64 v[51:52], v[41:42], -v[33:34]
	v_mul_f64 v[53:54], v[41:42], v[31:32]
	v_mul_f64 v[45:46], v[47:48], -v[29:30]
	v_mul_f64 v[55:56], v[47:48], v[27:28]
	s_waitcnt lgkmcnt(1)
	v_mul_f64 v[57:58], v[47:48], -v[14:15]
	v_mul_f64 v[59:60], v[47:48], v[12:13]
	v_mul_f64 v[61:62], v[41:42], v[10:11]
	v_mul_f64 v[41:42], v[41:42], -v[8:9]
	s_waitcnt lgkmcnt(0)
	v_mul_f64 v[63:64], v[47:48], v[37:38]
	v_mul_f64 v[47:48], v[47:48], -v[35:36]
	v_fma_f64 v[5:6], v[1:2], v[43:44], v[5:6]
	v_fma_f64 v[49:50], v[3:4], v[43:44], v[49:50]
	;; [unrolled: 1-line block ×4, first 2 shown]
	ds_load_b128 v[1:4], v26
	ds_load_b128 v[31:34], v23
	v_fma_f64 v[27:28], v[27:28], v[39:40], v[45:46]
	v_fma_f64 v[29:30], v[29:30], v[39:40], v[55:56]
	;; [unrolled: 1-line block ×4, first 2 shown]
	s_waitcnt lgkmcnt(1)
	v_add_f64 v[12:13], v[1:2], -v[5:6]
	v_add_f64 v[3:4], v[3:4], -v[49:50]
	s_waitcnt lgkmcnt(0)
	v_add_f64 v[31:32], v[31:32], -v[51:52]
	v_add_f64 v[33:34], v[33:34], -v[53:54]
	v_fma_f64 v[5:6], -v[8:9], v[43:44], v[61:62]
	v_fma_f64 v[7:8], -v[10:11], v[43:44], v[41:42]
	;; [unrolled: 1-line block ×3, first 2 shown]
	v_add_f64 v[13:14], v[12:13], -v[27:28]
	v_add_f64 v[15:16], v[3:4], -v[29:30]
	;; [unrolled: 1-line block ×4, first 2 shown]
	v_fma_f64 v[3:4], -v[37:38], v[39:40], v[47:48]
.LBB70_8:
	s_or_b32 exec_lo, exec_lo, s3
	s_barrier
	buffer_gl0_inv
	s_and_saveexec_b32 s2, s1
	s_cbranch_execz .LBB70_10
; %bb.9:
	ds_store_b128 v26, v[13:16]
	ds_store_b128 v23, v[9:12]
	;; [unrolled: 1-line block ×4, first 2 shown]
.LBB70_10:
	s_or_b32 exec_lo, exec_lo, s2
	s_waitcnt lgkmcnt(0)
	s_barrier
	buffer_gl0_inv
	s_and_saveexec_b32 s3, s1
	s_cbranch_execz .LBB70_12
; %bb.11:
	v_max_u32_e32 v1, 2, v0
	v_min_u32_e32 v9, 61, v0
	s_delay_alu instid0(VALU_DEP_2) | instskip(NEXT) | instid1(VALU_DEP_2)
	v_lshlrev_b32_e32 v53, 4, v1
	v_lshlrev_b32_e32 v54, 4, v9
	ds_load_b128 v[1:4], v53 offset:21472
	ds_load_b128 v[5:8], v53 offset:20448
	;; [unrolled: 1-line block ×4, first 2 shown]
	s_waitcnt lgkmcnt(3)
	v_mul_f64 v[27:28], v[3:4], v[3:4]
	s_waitcnt lgkmcnt(1)
	v_mul_f64 v[29:30], v[11:12], v[11:12]
	s_delay_alu instid0(VALU_DEP_2) | instskip(NEXT) | instid1(VALU_DEP_2)
	v_fma_f64 v[35:36], v[1:2], v[1:2], v[27:28]
	v_fma_f64 v[37:38], v[9:10], v[9:10], v[29:30]
	s_delay_alu instid0(VALU_DEP_2) | instskip(NEXT) | instid1(VALU_DEP_2)
	v_div_scale_f64 v[27:28], null, v[35:36], v[35:36], 1.0
	v_div_scale_f64 v[39:40], null, v[37:38], v[37:38], 1.0
	v_div_scale_f64 v[43:44], vcc_lo, 1.0, v[35:36], 1.0
	v_div_scale_f64 v[47:48], s2, 1.0, v[37:38], 1.0
	s_delay_alu instid0(VALU_DEP_4) | instskip(NEXT) | instid1(VALU_DEP_3)
	v_rcp_f64_e32 v[29:30], v[27:28]
	v_rcp_f64_e32 v[31:32], v[39:40]
	s_waitcnt_depctr 0xfff
	v_fma_f64 v[33:34], -v[27:28], v[29:30], 1.0
	v_fma_f64 v[41:42], -v[39:40], v[31:32], 1.0
	s_delay_alu instid0(VALU_DEP_2) | instskip(NEXT) | instid1(VALU_DEP_2)
	v_fma_f64 v[29:30], v[29:30], v[33:34], v[29:30]
	v_fma_f64 v[31:32], v[31:32], v[41:42], v[31:32]
	s_delay_alu instid0(VALU_DEP_2) | instskip(NEXT) | instid1(VALU_DEP_2)
	v_fma_f64 v[33:34], -v[27:28], v[29:30], 1.0
	v_fma_f64 v[41:42], -v[39:40], v[31:32], 1.0
	s_delay_alu instid0(VALU_DEP_2) | instskip(NEXT) | instid1(VALU_DEP_2)
	v_fma_f64 v[45:46], v[29:30], v[33:34], v[29:30]
	v_fma_f64 v[41:42], v[31:32], v[41:42], v[31:32]
	s_delay_alu instid0(VALU_DEP_2) | instskip(NEXT) | instid1(VALU_DEP_2)
	v_mul_f64 v[49:50], v[43:44], v[45:46]
	v_mul_f64 v[51:52], v[47:48], v[41:42]
	s_delay_alu instid0(VALU_DEP_2)
	v_fma_f64 v[43:44], -v[27:28], v[49:50], v[43:44]
	ds_load_b128 v[27:30], v25
	ds_load_b128 v[31:34], v24
	v_fma_f64 v[39:40], -v[39:40], v[51:52], v[47:48]
	s_waitcnt lgkmcnt(1)
	v_mul_f64 v[47:48], v[3:4], -v[27:28]
	v_mul_f64 v[3:4], v[3:4], v[29:30]
	v_div_fmas_f64 v[43:44], v[43:44], v[45:46], v[49:50]
	s_mov_b32 vcc_lo, s2
	s_waitcnt lgkmcnt(0)
	v_mul_f64 v[45:46], v[11:12], -v[31:32]
	v_div_fmas_f64 v[39:40], v[39:40], v[41:42], v[51:52]
	v_mul_f64 v[11:12], v[11:12], v[33:34]
	v_fma_f64 v[29:30], v[29:30], v[1:2], v[47:48]
	v_div_fixup_f64 v[35:36], v[43:44], v[35:36], 1.0
	v_fma_f64 v[33:34], v[33:34], v[9:10], v[45:46]
	v_div_fixup_f64 v[37:38], v[39:40], v[37:38], 1.0
	v_fma_f64 v[39:40], v[27:28], v[1:2], v[3:4]
	v_fma_f64 v[43:44], v[31:32], v[9:10], v[11:12]
	v_mul_f64 v[41:42], v[35:36], v[29:30]
	ds_load_b128 v[1:4], v53 offset:22496
	ds_load_b128 v[27:30], v53 offset:24544
	v_mul_f64 v[45:46], v[37:38], v[33:34]
	v_mul_f64 v[35:36], v[35:36], v[39:40]
	ds_load_b128 v[9:12], v54 offset:24608
	ds_load_b128 v[31:34], v54 offset:22560
	v_mul_f64 v[37:38], v[37:38], v[43:44]
	s_waitcnt lgkmcnt(3)
	v_mul_f64 v[39:40], v[41:42], -v[3:4]
	v_mul_f64 v[47:48], v[41:42], v[1:2]
	s_waitcnt lgkmcnt(2)
	v_mul_f64 v[49:50], v[41:42], -v[29:30]
	v_mul_f64 v[51:52], v[41:42], v[27:28]
	v_mul_f64 v[43:44], v[45:46], -v[15:16]
	v_mul_f64 v[53:54], v[45:46], v[13:14]
	s_waitcnt lgkmcnt(1)
	v_mul_f64 v[55:56], v[45:46], -v[11:12]
	v_mul_f64 v[57:58], v[45:46], v[9:10]
	v_mul_f64 v[59:60], v[41:42], v[7:8]
	v_mul_f64 v[41:42], v[41:42], -v[5:6]
	s_waitcnt lgkmcnt(0)
	v_mul_f64 v[61:62], v[45:46], v[33:34]
	v_fma_f64 v[39:40], v[1:2], v[35:36], v[39:40]
	v_fma_f64 v[47:48], v[3:4], v[35:36], v[47:48]
	;; [unrolled: 1-line block ×4, first 2 shown]
	ds_load_b128 v[1:4], v26
	ds_load_b128 v[27:30], v23
	v_fma_f64 v[13:14], v[13:14], v[37:38], v[43:44]
	v_fma_f64 v[15:16], v[15:16], v[37:38], v[53:54]
	;; [unrolled: 1-line block ×4, first 2 shown]
	v_mul_f64 v[43:44], v[45:46], -v[31:32]
	v_fma_f64 v[5:6], -v[5:6], v[35:36], v[59:60]
	v_fma_f64 v[7:8], -v[7:8], v[35:36], v[41:42]
	s_waitcnt lgkmcnt(1)
	v_add_f64 v[39:40], v[1:2], -v[39:40]
	v_add_f64 v[3:4], v[3:4], -v[47:48]
	s_waitcnt lgkmcnt(0)
	v_add_f64 v[27:28], v[27:28], -v[49:50]
	v_add_f64 v[29:30], v[29:30], -v[51:52]
	v_fma_f64 v[1:2], -v[31:32], v[37:38], v[61:62]
	v_add_f64 v[13:14], v[39:40], -v[13:14]
	v_add_f64 v[15:16], v[3:4], -v[15:16]
	;; [unrolled: 1-line block ×4, first 2 shown]
	v_fma_f64 v[3:4], -v[33:34], v[37:38], v[43:44]
.LBB70_12:
	s_or_b32 exec_lo, exec_lo, s3
	s_barrier
	buffer_gl0_inv
	s_and_saveexec_b32 s2, s1
	s_cbranch_execz .LBB70_14
; %bb.13:
	ds_store_b128 v26, v[13:16]
	ds_store_b128 v23, v[9:12]
	;; [unrolled: 1-line block ×4, first 2 shown]
.LBB70_14:
	s_or_b32 exec_lo, exec_lo, s2
	s_waitcnt lgkmcnt(0)
	s_barrier
	buffer_gl0_inv
	s_and_saveexec_b32 s3, s1
	s_cbranch_execz .LBB70_16
; %bb.15:
	v_max_u32_e32 v1, 4, v0
	v_min_u32_e32 v9, 59, v0
	s_delay_alu instid0(VALU_DEP_2) | instskip(NEXT) | instid1(VALU_DEP_2)
	v_lshlrev_b32_e32 v53, 4, v1
	v_lshlrev_b32_e32 v54, 4, v9
	ds_load_b128 v[1:4], v53 offset:21440
	ds_load_b128 v[5:8], v53 offset:20416
	;; [unrolled: 1-line block ×4, first 2 shown]
	s_waitcnt lgkmcnt(3)
	v_mul_f64 v[27:28], v[3:4], v[3:4]
	s_waitcnt lgkmcnt(1)
	v_mul_f64 v[29:30], v[11:12], v[11:12]
	s_delay_alu instid0(VALU_DEP_2) | instskip(NEXT) | instid1(VALU_DEP_2)
	v_fma_f64 v[35:36], v[1:2], v[1:2], v[27:28]
	v_fma_f64 v[37:38], v[9:10], v[9:10], v[29:30]
	s_delay_alu instid0(VALU_DEP_2) | instskip(NEXT) | instid1(VALU_DEP_2)
	v_div_scale_f64 v[27:28], null, v[35:36], v[35:36], 1.0
	v_div_scale_f64 v[39:40], null, v[37:38], v[37:38], 1.0
	v_div_scale_f64 v[43:44], vcc_lo, 1.0, v[35:36], 1.0
	v_div_scale_f64 v[47:48], s2, 1.0, v[37:38], 1.0
	s_delay_alu instid0(VALU_DEP_4) | instskip(NEXT) | instid1(VALU_DEP_3)
	v_rcp_f64_e32 v[29:30], v[27:28]
	v_rcp_f64_e32 v[31:32], v[39:40]
	s_waitcnt_depctr 0xfff
	v_fma_f64 v[33:34], -v[27:28], v[29:30], 1.0
	v_fma_f64 v[41:42], -v[39:40], v[31:32], 1.0
	s_delay_alu instid0(VALU_DEP_2) | instskip(NEXT) | instid1(VALU_DEP_2)
	v_fma_f64 v[29:30], v[29:30], v[33:34], v[29:30]
	v_fma_f64 v[31:32], v[31:32], v[41:42], v[31:32]
	s_delay_alu instid0(VALU_DEP_2) | instskip(NEXT) | instid1(VALU_DEP_2)
	v_fma_f64 v[33:34], -v[27:28], v[29:30], 1.0
	v_fma_f64 v[41:42], -v[39:40], v[31:32], 1.0
	s_delay_alu instid0(VALU_DEP_2) | instskip(NEXT) | instid1(VALU_DEP_2)
	v_fma_f64 v[45:46], v[29:30], v[33:34], v[29:30]
	v_fma_f64 v[41:42], v[31:32], v[41:42], v[31:32]
	s_delay_alu instid0(VALU_DEP_2) | instskip(NEXT) | instid1(VALU_DEP_2)
	v_mul_f64 v[49:50], v[43:44], v[45:46]
	v_mul_f64 v[51:52], v[47:48], v[41:42]
	s_delay_alu instid0(VALU_DEP_2)
	v_fma_f64 v[43:44], -v[27:28], v[49:50], v[43:44]
	ds_load_b128 v[27:30], v25
	ds_load_b128 v[31:34], v24
	v_fma_f64 v[39:40], -v[39:40], v[51:52], v[47:48]
	s_waitcnt lgkmcnt(1)
	v_mul_f64 v[47:48], v[3:4], -v[27:28]
	v_mul_f64 v[3:4], v[3:4], v[29:30]
	v_div_fmas_f64 v[43:44], v[43:44], v[45:46], v[49:50]
	s_mov_b32 vcc_lo, s2
	s_waitcnt lgkmcnt(0)
	v_mul_f64 v[45:46], v[11:12], -v[31:32]
	v_div_fmas_f64 v[39:40], v[39:40], v[41:42], v[51:52]
	v_mul_f64 v[11:12], v[11:12], v[33:34]
	v_fma_f64 v[29:30], v[29:30], v[1:2], v[47:48]
	v_div_fixup_f64 v[35:36], v[43:44], v[35:36], 1.0
	v_fma_f64 v[33:34], v[33:34], v[9:10], v[45:46]
	v_div_fixup_f64 v[37:38], v[39:40], v[37:38], 1.0
	v_fma_f64 v[39:40], v[27:28], v[1:2], v[3:4]
	v_fma_f64 v[43:44], v[31:32], v[9:10], v[11:12]
	v_mul_f64 v[41:42], v[35:36], v[29:30]
	ds_load_b128 v[1:4], v53 offset:22464
	ds_load_b128 v[27:30], v53 offset:24512
	v_mul_f64 v[45:46], v[37:38], v[33:34]
	v_mul_f64 v[35:36], v[35:36], v[39:40]
	ds_load_b128 v[9:12], v54 offset:24640
	ds_load_b128 v[31:34], v54 offset:22592
	v_mul_f64 v[37:38], v[37:38], v[43:44]
	s_waitcnt lgkmcnt(3)
	v_mul_f64 v[39:40], v[41:42], -v[3:4]
	v_mul_f64 v[47:48], v[41:42], v[1:2]
	s_waitcnt lgkmcnt(2)
	v_mul_f64 v[49:50], v[41:42], -v[29:30]
	v_mul_f64 v[51:52], v[41:42], v[27:28]
	v_mul_f64 v[43:44], v[45:46], -v[15:16]
	v_mul_f64 v[53:54], v[45:46], v[13:14]
	s_waitcnt lgkmcnt(1)
	v_mul_f64 v[55:56], v[45:46], -v[11:12]
	v_mul_f64 v[57:58], v[45:46], v[9:10]
	v_mul_f64 v[59:60], v[41:42], v[7:8]
	v_mul_f64 v[41:42], v[41:42], -v[5:6]
	s_waitcnt lgkmcnt(0)
	v_mul_f64 v[61:62], v[45:46], v[33:34]
	v_fma_f64 v[39:40], v[1:2], v[35:36], v[39:40]
	v_fma_f64 v[47:48], v[3:4], v[35:36], v[47:48]
	;; [unrolled: 1-line block ×4, first 2 shown]
	ds_load_b128 v[1:4], v26
	ds_load_b128 v[27:30], v23
	v_fma_f64 v[13:14], v[13:14], v[37:38], v[43:44]
	v_fma_f64 v[15:16], v[15:16], v[37:38], v[53:54]
	;; [unrolled: 1-line block ×4, first 2 shown]
	v_mul_f64 v[43:44], v[45:46], -v[31:32]
	v_fma_f64 v[5:6], -v[5:6], v[35:36], v[59:60]
	v_fma_f64 v[7:8], -v[7:8], v[35:36], v[41:42]
	s_waitcnt lgkmcnt(1)
	v_add_f64 v[39:40], v[1:2], -v[39:40]
	v_add_f64 v[3:4], v[3:4], -v[47:48]
	s_waitcnt lgkmcnt(0)
	v_add_f64 v[27:28], v[27:28], -v[49:50]
	v_add_f64 v[29:30], v[29:30], -v[51:52]
	v_fma_f64 v[1:2], -v[31:32], v[37:38], v[61:62]
	v_add_f64 v[13:14], v[39:40], -v[13:14]
	v_add_f64 v[15:16], v[3:4], -v[15:16]
	;; [unrolled: 1-line block ×4, first 2 shown]
	v_fma_f64 v[3:4], -v[33:34], v[37:38], v[43:44]
.LBB70_16:
	s_or_b32 exec_lo, exec_lo, s3
	s_barrier
	buffer_gl0_inv
	s_and_saveexec_b32 s2, s1
	s_cbranch_execz .LBB70_18
; %bb.17:
	ds_store_b128 v26, v[13:16]
	ds_store_b128 v23, v[9:12]
	;; [unrolled: 1-line block ×4, first 2 shown]
.LBB70_18:
	s_or_b32 exec_lo, exec_lo, s2
	s_waitcnt lgkmcnt(0)
	s_barrier
	buffer_gl0_inv
	s_and_saveexec_b32 s3, s1
	s_cbranch_execz .LBB70_20
; %bb.19:
	v_max_u32_e32 v1, 8, v0
	v_min_u32_e32 v9, 55, v0
	s_delay_alu instid0(VALU_DEP_2) | instskip(NEXT) | instid1(VALU_DEP_2)
	v_lshlrev_b32_e32 v53, 4, v1
	v_lshlrev_b32_e32 v54, 4, v9
	ds_load_b128 v[1:4], v53 offset:21376
	ds_load_b128 v[5:8], v53 offset:20352
	ds_load_b128 v[9:12], v54 offset:21632
	ds_load_b128 v[13:16], v54 offset:20608
	s_waitcnt lgkmcnt(3)
	v_mul_f64 v[27:28], v[3:4], v[3:4]
	s_waitcnt lgkmcnt(1)
	v_mul_f64 v[29:30], v[11:12], v[11:12]
	s_delay_alu instid0(VALU_DEP_2) | instskip(NEXT) | instid1(VALU_DEP_2)
	v_fma_f64 v[35:36], v[1:2], v[1:2], v[27:28]
	v_fma_f64 v[37:38], v[9:10], v[9:10], v[29:30]
	s_delay_alu instid0(VALU_DEP_2) | instskip(NEXT) | instid1(VALU_DEP_2)
	v_div_scale_f64 v[27:28], null, v[35:36], v[35:36], 1.0
	v_div_scale_f64 v[39:40], null, v[37:38], v[37:38], 1.0
	v_div_scale_f64 v[43:44], vcc_lo, 1.0, v[35:36], 1.0
	v_div_scale_f64 v[47:48], s2, 1.0, v[37:38], 1.0
	s_delay_alu instid0(VALU_DEP_4) | instskip(NEXT) | instid1(VALU_DEP_3)
	v_rcp_f64_e32 v[29:30], v[27:28]
	v_rcp_f64_e32 v[31:32], v[39:40]
	s_waitcnt_depctr 0xfff
	v_fma_f64 v[33:34], -v[27:28], v[29:30], 1.0
	v_fma_f64 v[41:42], -v[39:40], v[31:32], 1.0
	s_delay_alu instid0(VALU_DEP_2) | instskip(NEXT) | instid1(VALU_DEP_2)
	v_fma_f64 v[29:30], v[29:30], v[33:34], v[29:30]
	v_fma_f64 v[31:32], v[31:32], v[41:42], v[31:32]
	s_delay_alu instid0(VALU_DEP_2) | instskip(NEXT) | instid1(VALU_DEP_2)
	v_fma_f64 v[33:34], -v[27:28], v[29:30], 1.0
	v_fma_f64 v[41:42], -v[39:40], v[31:32], 1.0
	s_delay_alu instid0(VALU_DEP_2) | instskip(NEXT) | instid1(VALU_DEP_2)
	v_fma_f64 v[45:46], v[29:30], v[33:34], v[29:30]
	v_fma_f64 v[41:42], v[31:32], v[41:42], v[31:32]
	s_delay_alu instid0(VALU_DEP_2) | instskip(NEXT) | instid1(VALU_DEP_2)
	v_mul_f64 v[49:50], v[43:44], v[45:46]
	v_mul_f64 v[51:52], v[47:48], v[41:42]
	s_delay_alu instid0(VALU_DEP_2)
	v_fma_f64 v[43:44], -v[27:28], v[49:50], v[43:44]
	ds_load_b128 v[27:30], v25
	ds_load_b128 v[31:34], v24
	v_fma_f64 v[39:40], -v[39:40], v[51:52], v[47:48]
	s_waitcnt lgkmcnt(1)
	v_mul_f64 v[47:48], v[3:4], -v[27:28]
	v_mul_f64 v[3:4], v[3:4], v[29:30]
	v_div_fmas_f64 v[43:44], v[43:44], v[45:46], v[49:50]
	s_mov_b32 vcc_lo, s2
	s_waitcnt lgkmcnt(0)
	v_mul_f64 v[45:46], v[11:12], -v[31:32]
	v_div_fmas_f64 v[39:40], v[39:40], v[41:42], v[51:52]
	v_mul_f64 v[11:12], v[11:12], v[33:34]
	v_fma_f64 v[29:30], v[29:30], v[1:2], v[47:48]
	v_div_fixup_f64 v[35:36], v[43:44], v[35:36], 1.0
	v_fma_f64 v[33:34], v[33:34], v[9:10], v[45:46]
	v_div_fixup_f64 v[37:38], v[39:40], v[37:38], 1.0
	v_fma_f64 v[39:40], v[27:28], v[1:2], v[3:4]
	v_fma_f64 v[43:44], v[31:32], v[9:10], v[11:12]
	v_mul_f64 v[41:42], v[35:36], v[29:30]
	ds_load_b128 v[1:4], v53 offset:22400
	ds_load_b128 v[27:30], v53 offset:24448
	v_mul_f64 v[45:46], v[37:38], v[33:34]
	v_mul_f64 v[35:36], v[35:36], v[39:40]
	ds_load_b128 v[9:12], v54 offset:24704
	ds_load_b128 v[31:34], v54 offset:22656
	v_mul_f64 v[37:38], v[37:38], v[43:44]
	s_waitcnt lgkmcnt(3)
	v_mul_f64 v[39:40], v[41:42], -v[3:4]
	v_mul_f64 v[47:48], v[41:42], v[1:2]
	s_waitcnt lgkmcnt(2)
	v_mul_f64 v[49:50], v[41:42], -v[29:30]
	v_mul_f64 v[51:52], v[41:42], v[27:28]
	v_mul_f64 v[43:44], v[45:46], -v[15:16]
	v_mul_f64 v[53:54], v[45:46], v[13:14]
	s_waitcnt lgkmcnt(1)
	v_mul_f64 v[55:56], v[45:46], -v[11:12]
	v_mul_f64 v[57:58], v[45:46], v[9:10]
	v_mul_f64 v[59:60], v[41:42], v[7:8]
	v_mul_f64 v[41:42], v[41:42], -v[5:6]
	s_waitcnt lgkmcnt(0)
	v_mul_f64 v[61:62], v[45:46], v[33:34]
	v_fma_f64 v[39:40], v[1:2], v[35:36], v[39:40]
	v_fma_f64 v[47:48], v[3:4], v[35:36], v[47:48]
	;; [unrolled: 1-line block ×4, first 2 shown]
	ds_load_b128 v[1:4], v26
	ds_load_b128 v[27:30], v23
	v_fma_f64 v[13:14], v[13:14], v[37:38], v[43:44]
	v_fma_f64 v[15:16], v[15:16], v[37:38], v[53:54]
	;; [unrolled: 1-line block ×4, first 2 shown]
	v_mul_f64 v[43:44], v[45:46], -v[31:32]
	v_fma_f64 v[5:6], -v[5:6], v[35:36], v[59:60]
	v_fma_f64 v[7:8], -v[7:8], v[35:36], v[41:42]
	s_waitcnt lgkmcnt(1)
	v_add_f64 v[39:40], v[1:2], -v[39:40]
	v_add_f64 v[3:4], v[3:4], -v[47:48]
	s_waitcnt lgkmcnt(0)
	v_add_f64 v[27:28], v[27:28], -v[49:50]
	v_add_f64 v[29:30], v[29:30], -v[51:52]
	v_fma_f64 v[1:2], -v[31:32], v[37:38], v[61:62]
	v_add_f64 v[13:14], v[39:40], -v[13:14]
	v_add_f64 v[15:16], v[3:4], -v[15:16]
	;; [unrolled: 1-line block ×4, first 2 shown]
	v_fma_f64 v[3:4], -v[33:34], v[37:38], v[43:44]
.LBB70_20:
	s_or_b32 exec_lo, exec_lo, s3
	s_barrier
	buffer_gl0_inv
	s_and_saveexec_b32 s2, s1
	s_cbranch_execz .LBB70_22
; %bb.21:
	ds_store_b128 v26, v[13:16]
	ds_store_b128 v23, v[9:12]
	;; [unrolled: 1-line block ×4, first 2 shown]
.LBB70_22:
	s_or_b32 exec_lo, exec_lo, s2
	s_waitcnt lgkmcnt(0)
	s_barrier
	buffer_gl0_inv
	s_and_saveexec_b32 s3, s1
	s_cbranch_execz .LBB70_24
; %bb.23:
	v_max_u32_e32 v1, 16, v0
	v_min_u32_e32 v9, 47, v0
	s_delay_alu instid0(VALU_DEP_2) | instskip(NEXT) | instid1(VALU_DEP_2)
	v_lshlrev_b32_e32 v53, 4, v1
	v_lshlrev_b32_e32 v54, 4, v9
	ds_load_b128 v[1:4], v53 offset:21248
	ds_load_b128 v[5:8], v53 offset:20224
	;; [unrolled: 1-line block ×4, first 2 shown]
	s_waitcnt lgkmcnt(3)
	v_mul_f64 v[27:28], v[3:4], v[3:4]
	s_waitcnt lgkmcnt(1)
	v_mul_f64 v[29:30], v[11:12], v[11:12]
	s_delay_alu instid0(VALU_DEP_2) | instskip(NEXT) | instid1(VALU_DEP_2)
	v_fma_f64 v[35:36], v[1:2], v[1:2], v[27:28]
	v_fma_f64 v[37:38], v[9:10], v[9:10], v[29:30]
	s_delay_alu instid0(VALU_DEP_2) | instskip(NEXT) | instid1(VALU_DEP_2)
	v_div_scale_f64 v[27:28], null, v[35:36], v[35:36], 1.0
	v_div_scale_f64 v[39:40], null, v[37:38], v[37:38], 1.0
	v_div_scale_f64 v[43:44], vcc_lo, 1.0, v[35:36], 1.0
	v_div_scale_f64 v[47:48], s2, 1.0, v[37:38], 1.0
	s_delay_alu instid0(VALU_DEP_4) | instskip(NEXT) | instid1(VALU_DEP_3)
	v_rcp_f64_e32 v[29:30], v[27:28]
	v_rcp_f64_e32 v[31:32], v[39:40]
	s_waitcnt_depctr 0xfff
	v_fma_f64 v[33:34], -v[27:28], v[29:30], 1.0
	v_fma_f64 v[41:42], -v[39:40], v[31:32], 1.0
	s_delay_alu instid0(VALU_DEP_2) | instskip(NEXT) | instid1(VALU_DEP_2)
	v_fma_f64 v[29:30], v[29:30], v[33:34], v[29:30]
	v_fma_f64 v[31:32], v[31:32], v[41:42], v[31:32]
	s_delay_alu instid0(VALU_DEP_2) | instskip(NEXT) | instid1(VALU_DEP_2)
	v_fma_f64 v[33:34], -v[27:28], v[29:30], 1.0
	v_fma_f64 v[41:42], -v[39:40], v[31:32], 1.0
	s_delay_alu instid0(VALU_DEP_2) | instskip(NEXT) | instid1(VALU_DEP_2)
	v_fma_f64 v[45:46], v[29:30], v[33:34], v[29:30]
	v_fma_f64 v[41:42], v[31:32], v[41:42], v[31:32]
	s_delay_alu instid0(VALU_DEP_2) | instskip(NEXT) | instid1(VALU_DEP_2)
	v_mul_f64 v[49:50], v[43:44], v[45:46]
	v_mul_f64 v[51:52], v[47:48], v[41:42]
	s_delay_alu instid0(VALU_DEP_2)
	v_fma_f64 v[43:44], -v[27:28], v[49:50], v[43:44]
	ds_load_b128 v[27:30], v25
	ds_load_b128 v[31:34], v24
	v_fma_f64 v[39:40], -v[39:40], v[51:52], v[47:48]
	s_waitcnt lgkmcnt(1)
	v_mul_f64 v[47:48], v[3:4], -v[27:28]
	v_mul_f64 v[3:4], v[3:4], v[29:30]
	v_div_fmas_f64 v[43:44], v[43:44], v[45:46], v[49:50]
	s_mov_b32 vcc_lo, s2
	s_waitcnt lgkmcnt(0)
	v_mul_f64 v[45:46], v[11:12], -v[31:32]
	v_div_fmas_f64 v[39:40], v[39:40], v[41:42], v[51:52]
	v_mul_f64 v[11:12], v[11:12], v[33:34]
	v_fma_f64 v[29:30], v[29:30], v[1:2], v[47:48]
	v_div_fixup_f64 v[35:36], v[43:44], v[35:36], 1.0
	v_fma_f64 v[33:34], v[33:34], v[9:10], v[45:46]
	v_div_fixup_f64 v[37:38], v[39:40], v[37:38], 1.0
	v_fma_f64 v[39:40], v[27:28], v[1:2], v[3:4]
	v_fma_f64 v[43:44], v[31:32], v[9:10], v[11:12]
	v_mul_f64 v[41:42], v[35:36], v[29:30]
	ds_load_b128 v[1:4], v53 offset:22272
	ds_load_b128 v[27:30], v53 offset:24320
	v_mul_f64 v[45:46], v[37:38], v[33:34]
	v_mul_f64 v[35:36], v[35:36], v[39:40]
	ds_load_b128 v[9:12], v54 offset:24832
	ds_load_b128 v[31:34], v54 offset:22784
	v_mul_f64 v[37:38], v[37:38], v[43:44]
	s_waitcnt lgkmcnt(3)
	v_mul_f64 v[39:40], v[41:42], -v[3:4]
	v_mul_f64 v[47:48], v[41:42], v[1:2]
	s_waitcnt lgkmcnt(2)
	v_mul_f64 v[49:50], v[41:42], -v[29:30]
	v_mul_f64 v[51:52], v[41:42], v[27:28]
	v_mul_f64 v[43:44], v[45:46], -v[15:16]
	v_mul_f64 v[53:54], v[45:46], v[13:14]
	s_waitcnt lgkmcnt(1)
	v_mul_f64 v[55:56], v[45:46], -v[11:12]
	v_mul_f64 v[57:58], v[45:46], v[9:10]
	v_mul_f64 v[59:60], v[41:42], v[7:8]
	v_mul_f64 v[41:42], v[41:42], -v[5:6]
	s_waitcnt lgkmcnt(0)
	v_mul_f64 v[61:62], v[45:46], v[33:34]
	v_fma_f64 v[39:40], v[1:2], v[35:36], v[39:40]
	v_fma_f64 v[47:48], v[3:4], v[35:36], v[47:48]
	;; [unrolled: 1-line block ×4, first 2 shown]
	ds_load_b128 v[1:4], v26
	ds_load_b128 v[27:30], v23
	v_fma_f64 v[13:14], v[13:14], v[37:38], v[43:44]
	v_fma_f64 v[15:16], v[15:16], v[37:38], v[53:54]
	;; [unrolled: 1-line block ×4, first 2 shown]
	v_mul_f64 v[43:44], v[45:46], -v[31:32]
	v_fma_f64 v[5:6], -v[5:6], v[35:36], v[59:60]
	v_fma_f64 v[7:8], -v[7:8], v[35:36], v[41:42]
	s_waitcnt lgkmcnt(1)
	v_add_f64 v[39:40], v[1:2], -v[39:40]
	v_add_f64 v[3:4], v[3:4], -v[47:48]
	s_waitcnt lgkmcnt(0)
	v_add_f64 v[27:28], v[27:28], -v[49:50]
	v_add_f64 v[29:30], v[29:30], -v[51:52]
	v_fma_f64 v[1:2], -v[31:32], v[37:38], v[61:62]
	v_add_f64 v[13:14], v[39:40], -v[13:14]
	v_add_f64 v[15:16], v[3:4], -v[15:16]
	;; [unrolled: 1-line block ×4, first 2 shown]
	v_fma_f64 v[3:4], -v[33:34], v[37:38], v[43:44]
.LBB70_24:
	s_or_b32 exec_lo, exec_lo, s3
	s_barrier
	buffer_gl0_inv
	s_and_saveexec_b32 s2, s1
	s_cbranch_execz .LBB70_26
; %bb.25:
	ds_store_b128 v26, v[13:16]
	ds_store_b128 v23, v[9:12]
	;; [unrolled: 1-line block ×4, first 2 shown]
.LBB70_26:
	s_or_b32 exec_lo, exec_lo, s2
	s_delay_alu instid0(SALU_CYCLE_1)
	s_mov_b32 s2, exec_lo
	s_waitcnt lgkmcnt(0)
	s_barrier
	buffer_gl0_inv
	v_cmpx_gt_u32_e32 32, v0
	s_cbranch_execz .LBB70_28
; %bb.27:
	ds_load_b128 v[1:4], v26
	ds_load_b128 v[5:8], v26 offset:512
	ds_load_b128 v[9:12], v25 offset:512
	ds_load_b128 v[13:16], v24
	s_waitcnt lgkmcnt(2)
	v_mul_f64 v[24:25], v[3:4], v[5:6]
	v_mul_f64 v[28:29], v[3:4], -v[7:8]
	s_waitcnt lgkmcnt(0)
	v_mul_f64 v[26:27], v[11:12], v[13:14]
	v_mul_f64 v[30:31], v[11:12], -v[15:16]
	s_delay_alu instid0(VALU_DEP_4) | instskip(NEXT) | instid1(VALU_DEP_4)
	v_fma_f64 v[24:25], v[7:8], v[1:2], v[24:25]
	v_fma_f64 v[28:29], v[5:6], v[1:2], v[28:29]
	s_delay_alu instid0(VALU_DEP_4) | instskip(NEXT) | instid1(VALU_DEP_4)
	v_fma_f64 v[26:27], v[15:16], v[9:10], v[26:27]
	v_fma_f64 v[30:31], v[13:14], v[9:10], v[30:31]
	s_delay_alu instid0(VALU_DEP_2) | instskip(NEXT) | instid1(VALU_DEP_2)
	v_add_f64 v[32:33], v[24:25], -v[26:27]
	v_add_f64 v[34:35], v[28:29], -v[30:31]
	s_delay_alu instid0(VALU_DEP_2) | instskip(NEXT) | instid1(VALU_DEP_1)
	v_mul_f64 v[24:25], v[32:33], v[32:33]
	v_fma_f64 v[36:37], v[34:35], v[34:35], v[24:25]
	s_delay_alu instid0(VALU_DEP_1) | instskip(SKIP_1) | instid1(VALU_DEP_2)
	v_div_scale_f64 v[24:25], null, v[36:37], v[36:37], 1.0
	v_div_scale_f64 v[30:31], vcc_lo, 1.0, v[36:37], 1.0
	v_rcp_f64_e32 v[26:27], v[24:25]
	s_waitcnt_depctr 0xfff
	v_fma_f64 v[28:29], -v[24:25], v[26:27], 1.0
	s_delay_alu instid0(VALU_DEP_1) | instskip(NEXT) | instid1(VALU_DEP_1)
	v_fma_f64 v[26:27], v[26:27], v[28:29], v[26:27]
	v_fma_f64 v[28:29], -v[24:25], v[26:27], 1.0
	s_delay_alu instid0(VALU_DEP_1) | instskip(NEXT) | instid1(VALU_DEP_1)
	v_fma_f64 v[38:39], v[26:27], v[28:29], v[26:27]
	v_mul_f64 v[40:41], v[30:31], v[38:39]
	s_delay_alu instid0(VALU_DEP_1)
	v_fma_f64 v[42:43], -v[24:25], v[40:41], v[30:31]
	ds_load_b128 v[24:27], v23
	ds_load_b128 v[28:31], v23 offset:512
	s_waitcnt lgkmcnt(1)
	v_mul_f64 v[44:45], v[26:27], -v[7:8]
	v_mul_f64 v[46:47], v[5:6], v[26:27]
	s_waitcnt lgkmcnt(0)
	v_mul_f64 v[48:49], v[30:31], -v[15:16]
	v_mul_f64 v[50:51], v[13:14], v[30:31]
	v_mul_f64 v[52:53], v[3:4], -v[30:31]
	v_mul_f64 v[3:4], v[3:4], v[28:29]
	v_div_fmas_f64 v[38:39], v[42:43], v[38:39], v[40:41]
	v_mul_f64 v[40:41], v[11:12], v[24:25]
	v_mul_f64 v[11:12], v[11:12], -v[26:27]
	v_fma_f64 v[42:43], v[34:35], 0, -v[32:33]
	v_fma_f64 v[5:6], v[5:6], v[24:25], v[44:45]
	v_fma_f64 v[7:8], v[7:8], v[24:25], v[46:47]
	;; [unrolled: 1-line block ×6, first 2 shown]
	v_div_fixup_f64 v[36:37], v[38:39], v[36:37], 1.0
	v_fma_f64 v[3:4], v[26:27], v[9:10], v[40:41]
	v_fma_f64 v[9:10], v[24:25], v[9:10], v[11:12]
	;; [unrolled: 1-line block ×3, first 2 shown]
	v_add_f64 v[5:6], v[5:6], -v[13:14]
	v_add_f64 v[7:8], v[7:8], -v[15:16]
	v_mul_f64 v[15:16], v[42:43], v[36:37]
	v_add_f64 v[13:14], v[1:2], -v[3:4]
	v_add_f64 v[9:10], v[28:29], -v[9:10]
	v_mul_f64 v[11:12], v[11:12], v[36:37]
	s_delay_alu instid0(VALU_DEP_4) | instskip(SKIP_3) | instid1(VALU_DEP_4)
	v_mul_f64 v[1:2], v[15:16], -v[7:8]
	v_mul_f64 v[3:4], v[15:16], v[5:6]
	v_mul_f64 v[23:24], v[15:16], -v[13:14]
	v_mul_f64 v[15:16], v[15:16], v[9:10]
	v_fma_f64 v[1:2], v[5:6], v[11:12], v[1:2]
	s_delay_alu instid0(VALU_DEP_4) | instskip(NEXT) | instid1(VALU_DEP_4)
	v_fma_f64 v[3:4], v[7:8], v[11:12], v[3:4]
	v_fma_f64 v[5:6], v[9:10], v[11:12], v[23:24]
	s_delay_alu instid0(VALU_DEP_4)
	v_fma_f64 v[7:8], v[13:14], v[11:12], v[15:16]
	ds_store_b128 v21, v[1:4] offset:23552
	ds_store_b128 v21, v[5:8] offset:24064
.LBB70_28:
	s_or_b32 exec_lo, exec_lo, s2
	s_waitcnt lgkmcnt(0)
	s_barrier
	buffer_gl0_inv
	s_and_saveexec_b32 s2, s1
	s_cbranch_execz .LBB70_30
; %bb.29:
	ds_load_b128 v[1:4], v21 offset:23552
	s_waitcnt lgkmcnt(0)
	ds_store_b128 v22, v[1:4] offset:12272
.LBB70_30:
	s_or_b32 exec_lo, exec_lo, s2
	s_waitcnt lgkmcnt(0)
	s_barrier
	buffer_gl0_inv
	s_and_saveexec_b32 s2, s1
	s_cbranch_execz .LBB70_36
; %bb.31:
	v_lshlrev_b32_e32 v1, 2, v0
	s_mov_b32 s1, exec_lo
                                        ; implicit-def: $vgpr3_vgpr4
	s_delay_alu instid0(VALU_DEP_1)
	v_lshlrev_b32_e32 v5, 4, v1
	v_cmpx_ne_u32_e32 0, v0
	s_xor_b32 s1, exec_lo, s1
	s_cbranch_execz .LBB70_33
; %bb.32:
	ds_load_b128 v[1:4], v5 offset:4112
	s_waitcnt lgkmcnt(0)
	v_mul_f64 v[6:7], v[3:4], v[3:4]
	s_delay_alu instid0(VALU_DEP_1) | instskip(NEXT) | instid1(VALU_DEP_1)
	v_fma_f64 v[26:27], v[1:2], v[1:2], v[6:7]
	v_div_scale_f64 v[28:29], null, v[26:27], v[26:27], 1.0
	v_div_scale_f64 v[40:41], vcc_lo, 1.0, v[26:27], 1.0
	s_delay_alu instid0(VALU_DEP_2) | instskip(SKIP_2) | instid1(VALU_DEP_1)
	v_rcp_f64_e32 v[6:7], v[28:29]
	s_waitcnt_depctr 0xfff
	v_fma_f64 v[8:9], -v[28:29], v[6:7], 1.0
	v_fma_f64 v[30:31], v[6:7], v[8:9], v[6:7]
	ds_load_b128 v[6:9], v5 offset:16
	ds_load_b128 v[10:13], v5 offset:12272
	;; [unrolled: 1-line block ×3, first 2 shown]
	s_waitcnt lgkmcnt(1)
	v_mul_f64 v[32:33], v[12:13], v[6:7]
	v_mul_f64 v[36:37], v[12:13], -v[8:9]
	ds_load_b128 v[12:15], v5 offset:12336
	v_fma_f64 v[34:35], -v[28:29], v[30:31], 1.0
	v_fma_f64 v[32:33], v[8:9], v[10:11], v[32:33]
	v_fma_f64 v[10:11], v[6:7], v[10:11], v[36:37]
	ds_load_b128 v[6:9], v5 offset:16400
	s_waitcnt lgkmcnt(1)
	v_mul_f64 v[38:39], v[14:15], -v[24:25]
	v_mul_f64 v[14:15], v[14:15], v[22:23]
	v_fma_f64 v[30:31], v[30:31], v[34:35], v[30:31]
	s_waitcnt lgkmcnt(0)
	v_add_f64 v[8:9], v[8:9], -v[32:33]
	v_add_f64 v[6:7], v[6:7], -v[10:11]
	s_delay_alu instid0(VALU_DEP_4) | instskip(SKIP_2) | instid1(VALU_DEP_3)
	v_fma_f64 v[14:15], v[24:25], v[12:13], v[14:15]
	v_fma_f64 v[12:13], v[22:23], v[12:13], v[38:39]
	v_mul_f64 v[22:23], v[40:41], v[30:31]
	v_add_f64 v[8:9], v[8:9], -v[14:15]
	s_delay_alu instid0(VALU_DEP_3) | instskip(NEXT) | instid1(VALU_DEP_3)
	v_add_f64 v[6:7], v[6:7], -v[12:13]
	v_fma_f64 v[10:11], -v[28:29], v[22:23], v[40:41]
	s_delay_alu instid0(VALU_DEP_3) | instskip(NEXT) | instid1(VALU_DEP_3)
	v_mul_f64 v[12:13], v[8:9], v[3:4]
	v_mul_f64 v[3:4], v[3:4], -v[6:7]
	s_delay_alu instid0(VALU_DEP_3) | instskip(NEXT) | instid1(VALU_DEP_3)
	v_div_fmas_f64 v[10:11], v[10:11], v[30:31], v[22:23]
	v_fma_f64 v[6:7], v[6:7], v[1:2], v[12:13]
	s_delay_alu instid0(VALU_DEP_3) | instskip(NEXT) | instid1(VALU_DEP_3)
	v_fma_f64 v[3:4], v[8:9], v[1:2], v[3:4]
	v_div_fixup_f64 v[10:11], v[10:11], v[26:27], 1.0
	s_delay_alu instid0(VALU_DEP_1) | instskip(NEXT) | instid1(VALU_DEP_3)
	v_mul_f64 v[1:2], v[6:7], v[10:11]
	v_mul_f64 v[3:4], v[10:11], v[3:4]
.LBB70_33:
	s_and_not1_saveexec_b32 s1, s1
	s_cbranch_execz .LBB70_35
; %bb.34:
	ds_load_b128 v[1:4], v5 offset:4112
	s_waitcnt lgkmcnt(0)
	v_mul_f64 v[6:7], v[3:4], v[3:4]
	s_delay_alu instid0(VALU_DEP_1) | instskip(NEXT) | instid1(VALU_DEP_1)
	v_fma_f64 v[14:15], v[1:2], v[1:2], v[6:7]
	v_div_scale_f64 v[26:27], null, v[14:15], v[14:15], 1.0
	v_div_scale_f64 v[34:35], vcc_lo, 1.0, v[14:15], 1.0
	s_delay_alu instid0(VALU_DEP_2) | instskip(SKIP_2) | instid1(VALU_DEP_1)
	v_rcp_f64_e32 v[6:7], v[26:27]
	s_waitcnt_depctr 0xfff
	v_fma_f64 v[8:9], -v[26:27], v[6:7], 1.0
	v_fma_f64 v[28:29], v[6:7], v[8:9], v[6:7]
	ds_load_b128 v[6:9], v5 offset:8208
	ds_load_b128 v[10:13], v5 offset:12336
	;; [unrolled: 1-line block ×3, first 2 shown]
	s_waitcnt lgkmcnt(1)
	v_mul_f64 v[32:33], v[12:13], v[6:7]
	v_mul_f64 v[12:13], v[12:13], -v[8:9]
	v_fma_f64 v[30:31], -v[26:27], v[28:29], 1.0
	s_delay_alu instid0(VALU_DEP_3) | instskip(NEXT) | instid1(VALU_DEP_3)
	v_fma_f64 v[8:9], v[8:9], v[10:11], v[32:33]
	v_fma_f64 v[6:7], v[6:7], v[10:11], v[12:13]
	s_delay_alu instid0(VALU_DEP_3) | instskip(SKIP_1) | instid1(VALU_DEP_3)
	v_fma_f64 v[28:29], v[28:29], v[30:31], v[28:29]
	s_waitcnt lgkmcnt(0)
	v_add_f64 v[8:9], v[24:25], -v[8:9]
	s_delay_alu instid0(VALU_DEP_3) | instskip(NEXT) | instid1(VALU_DEP_3)
	v_add_f64 v[6:7], v[22:23], -v[6:7]
	v_mul_f64 v[30:31], v[34:35], v[28:29]
	s_delay_alu instid0(VALU_DEP_3) | instskip(NEXT) | instid1(VALU_DEP_3)
	v_mul_f64 v[12:13], v[8:9], v[3:4]
	v_mul_f64 v[3:4], v[3:4], -v[6:7]
	s_delay_alu instid0(VALU_DEP_3) | instskip(NEXT) | instid1(VALU_DEP_3)
	v_fma_f64 v[10:11], -v[26:27], v[30:31], v[34:35]
	v_fma_f64 v[6:7], v[6:7], v[1:2], v[12:13]
	s_delay_alu instid0(VALU_DEP_3) | instskip(NEXT) | instid1(VALU_DEP_3)
	v_fma_f64 v[3:4], v[8:9], v[1:2], v[3:4]
	v_div_fmas_f64 v[10:11], v[10:11], v[28:29], v[30:31]
	s_delay_alu instid0(VALU_DEP_1) | instskip(NEXT) | instid1(VALU_DEP_1)
	v_div_fixup_f64 v[10:11], v[10:11], v[14:15], 1.0
	v_mul_f64 v[1:2], v[6:7], v[10:11]
	s_delay_alu instid0(VALU_DEP_4)
	v_mul_f64 v[3:4], v[3:4], v[10:11]
.LBB70_35:
	s_or_b32 exec_lo, exec_lo, s1
	ds_store_b128 v5, v[1:4] offset:12304
.LBB70_36:
	s_or_b32 exec_lo, exec_lo, s2
	s_waitcnt lgkmcnt(0)
	s_barrier
	buffer_gl0_inv
	s_and_saveexec_b32 s1, s0
	s_cbranch_execz .LBB70_42
; %bb.37:
	v_lshlrev_b32_e32 v1, 1, v0
	s_mov_b32 s0, exec_lo
                                        ; implicit-def: $vgpr2_vgpr3
	s_delay_alu instid0(VALU_DEP_1)
	v_lshlrev_b32_e32 v4, 4, v1
	v_cmpx_ne_u32_e32 0, v0
	s_xor_b32 s0, exec_lo, s0
	s_cbranch_execz .LBB70_39
; %bb.38:
	ds_load_b128 v[0:3], v4 offset:4096
	s_waitcnt lgkmcnt(0)
	v_mul_f64 v[5:6], v[2:3], v[2:3]
	s_delay_alu instid0(VALU_DEP_1) | instskip(NEXT) | instid1(VALU_DEP_1)
	v_fma_f64 v[26:27], v[0:1], v[0:1], v[5:6]
	v_div_scale_f64 v[28:29], null, v[26:27], v[26:27], 1.0
	v_div_scale_f64 v[38:39], vcc_lo, 1.0, v[26:27], 1.0
	s_delay_alu instid0(VALU_DEP_2) | instskip(SKIP_2) | instid1(VALU_DEP_1)
	v_rcp_f64_e32 v[5:6], v[28:29]
	s_waitcnt_depctr 0xfff
	v_fma_f64 v[7:8], -v[28:29], v[5:6], 1.0
	v_fma_f64 v[30:31], v[5:6], v[7:8], v[5:6]
	ds_load_b128 v[5:8], v4
	ds_load_b128 v[9:12], v4 offset:12272
	ds_load_b128 v[13:16], v4 offset:8192
	ds_load_b128 v[22:25], v4 offset:12304
	s_waitcnt lgkmcnt(2)
	v_mul_f64 v[32:33], v[11:12], v[5:6]
	v_mul_f64 v[11:12], v[11:12], -v[7:8]
	v_fma_f64 v[34:35], -v[28:29], v[30:31], 1.0
	s_delay_alu instid0(VALU_DEP_3) | instskip(NEXT) | instid1(VALU_DEP_3)
	v_fma_f64 v[32:33], v[7:8], v[9:10], v[32:33]
	v_fma_f64 v[9:10], v[5:6], v[9:10], v[11:12]
	ds_load_b128 v[5:8], v4 offset:16384
	s_waitcnt lgkmcnt(1)
	v_mul_f64 v[36:37], v[24:25], -v[15:16]
	v_mul_f64 v[24:25], v[24:25], v[13:14]
	v_fma_f64 v[30:31], v[30:31], v[34:35], v[30:31]
	s_waitcnt lgkmcnt(0)
	v_add_f64 v[7:8], v[7:8], -v[32:33]
	v_add_f64 v[5:6], v[5:6], -v[9:10]
	v_fma_f64 v[13:14], v[13:14], v[22:23], v[36:37]
	v_fma_f64 v[11:12], v[15:16], v[22:23], v[24:25]
	v_mul_f64 v[15:16], v[38:39], v[30:31]
	s_delay_alu instid0(VALU_DEP_3) | instskip(NEXT) | instid1(VALU_DEP_3)
	v_add_f64 v[5:6], v[5:6], -v[13:14]
	v_add_f64 v[7:8], v[7:8], -v[11:12]
	s_delay_alu instid0(VALU_DEP_3) | instskip(NEXT) | instid1(VALU_DEP_2)
	v_fma_f64 v[9:10], -v[28:29], v[15:16], v[38:39]
	v_mul_f64 v[11:12], v[7:8], v[2:3]
	s_delay_alu instid0(VALU_DEP_4) | instskip(NEXT) | instid1(VALU_DEP_3)
	v_mul_f64 v[2:3], v[2:3], -v[5:6]
	v_div_fmas_f64 v[9:10], v[9:10], v[30:31], v[15:16]
	s_delay_alu instid0(VALU_DEP_3) | instskip(NEXT) | instid1(VALU_DEP_3)
	v_fma_f64 v[5:6], v[5:6], v[0:1], v[11:12]
	v_fma_f64 v[2:3], v[7:8], v[0:1], v[2:3]
	s_delay_alu instid0(VALU_DEP_3) | instskip(NEXT) | instid1(VALU_DEP_1)
	v_div_fixup_f64 v[9:10], v[9:10], v[26:27], 1.0
	v_mul_f64 v[0:1], v[5:6], v[9:10]
	s_delay_alu instid0(VALU_DEP_3)
	v_mul_f64 v[2:3], v[9:10], v[2:3]
.LBB70_39:
	s_and_not1_saveexec_b32 s0, s0
	s_cbranch_execz .LBB70_41
; %bb.40:
	ds_load_b128 v[0:3], v4 offset:4096
	s_waitcnt lgkmcnt(0)
	v_mul_f64 v[5:6], v[2:3], v[2:3]
	s_delay_alu instid0(VALU_DEP_1) | instskip(NEXT) | instid1(VALU_DEP_1)
	v_fma_f64 v[22:23], v[0:1], v[0:1], v[5:6]
	v_div_scale_f64 v[24:25], null, v[22:23], v[22:23], 1.0
	v_div_scale_f64 v[32:33], vcc_lo, 1.0, v[22:23], 1.0
	s_delay_alu instid0(VALU_DEP_2) | instskip(SKIP_2) | instid1(VALU_DEP_1)
	v_rcp_f64_e32 v[5:6], v[24:25]
	s_waitcnt_depctr 0xfff
	v_fma_f64 v[7:8], -v[24:25], v[5:6], 1.0
	v_fma_f64 v[26:27], v[5:6], v[7:8], v[5:6]
	ds_load_b128 v[5:8], v4 offset:8192
	ds_load_b128 v[9:12], v4 offset:12304
	;; [unrolled: 1-line block ×3, first 2 shown]
	s_waitcnt lgkmcnt(1)
	v_mul_f64 v[30:31], v[11:12], v[5:6]
	v_mul_f64 v[11:12], v[11:12], -v[7:8]
	v_fma_f64 v[28:29], -v[24:25], v[26:27], 1.0
	s_delay_alu instid0(VALU_DEP_3) | instskip(NEXT) | instid1(VALU_DEP_3)
	v_fma_f64 v[7:8], v[7:8], v[9:10], v[30:31]
	v_fma_f64 v[5:6], v[5:6], v[9:10], v[11:12]
	s_delay_alu instid0(VALU_DEP_3) | instskip(SKIP_1) | instid1(VALU_DEP_3)
	v_fma_f64 v[26:27], v[26:27], v[28:29], v[26:27]
	s_waitcnt lgkmcnt(0)
	v_add_f64 v[7:8], v[15:16], -v[7:8]
	s_delay_alu instid0(VALU_DEP_3) | instskip(NEXT) | instid1(VALU_DEP_3)
	v_add_f64 v[5:6], v[13:14], -v[5:6]
	v_mul_f64 v[28:29], v[32:33], v[26:27]
	s_delay_alu instid0(VALU_DEP_3) | instskip(NEXT) | instid1(VALU_DEP_3)
	v_mul_f64 v[11:12], v[7:8], v[2:3]
	v_mul_f64 v[2:3], v[2:3], -v[5:6]
	s_delay_alu instid0(VALU_DEP_3) | instskip(NEXT) | instid1(VALU_DEP_3)
	v_fma_f64 v[9:10], -v[24:25], v[28:29], v[32:33]
	v_fma_f64 v[5:6], v[5:6], v[0:1], v[11:12]
	s_delay_alu instid0(VALU_DEP_3) | instskip(NEXT) | instid1(VALU_DEP_3)
	v_fma_f64 v[2:3], v[7:8], v[0:1], v[2:3]
	v_div_fmas_f64 v[9:10], v[9:10], v[26:27], v[28:29]
	s_delay_alu instid0(VALU_DEP_1) | instskip(NEXT) | instid1(VALU_DEP_1)
	v_div_fixup_f64 v[9:10], v[9:10], v[22:23], 1.0
	v_mul_f64 v[0:1], v[5:6], v[9:10]
	s_delay_alu instid0(VALU_DEP_4)
	v_mul_f64 v[2:3], v[2:3], v[9:10]
.LBB70_41:
	s_or_b32 exec_lo, exec_lo, s0
	ds_store_b128 v4, v[0:3] offset:12288
.LBB70_42:
	s_or_b32 exec_lo, exec_lo, s1
	v_or_b32_e32 v0, 0x3000, v21
	v_or_b32_e32 v4, 0x3800, v21
	s_waitcnt lgkmcnt(0)
	s_barrier
	buffer_gl0_inv
	ds_load_2addr_b64 v[0:3], v0 offset1:1
	ds_load_2addr_b64 v[4:7], v4 offset1:1
	s_waitcnt lgkmcnt(1)
	global_store_b128 v[17:18], v[0:3], off
	s_waitcnt lgkmcnt(0)
	global_store_b128 v[19:20], v[4:7], off
	s_nop 0
	s_sendmsg sendmsg(MSG_DEALLOC_VGPRS)
	s_endpgm
	.section	.rodata,"a",@progbits
	.p2align	6, 0x0
	.amdhsa_kernel _ZN9rocsparseL51gtsv_nopivot_strided_batch_crpcr_pow2_shared_kernelILj128ELj64E21rocsparse_complex_numIdEEEviiiPKT1_S5_S5_PS3_
		.amdhsa_group_segment_fixed_size 25600
		.amdhsa_private_segment_fixed_size 0
		.amdhsa_kernarg_size 48
		.amdhsa_user_sgpr_count 15
		.amdhsa_user_sgpr_dispatch_ptr 0
		.amdhsa_user_sgpr_queue_ptr 0
		.amdhsa_user_sgpr_kernarg_segment_ptr 1
		.amdhsa_user_sgpr_dispatch_id 0
		.amdhsa_user_sgpr_private_segment_size 0
		.amdhsa_wavefront_size32 1
		.amdhsa_uses_dynamic_stack 0
		.amdhsa_enable_private_segment 0
		.amdhsa_system_sgpr_workgroup_id_x 1
		.amdhsa_system_sgpr_workgroup_id_y 0
		.amdhsa_system_sgpr_workgroup_id_z 0
		.amdhsa_system_sgpr_workgroup_info 0
		.amdhsa_system_vgpr_workitem_id 0
		.amdhsa_next_free_vgpr 66
		.amdhsa_next_free_sgpr 16
		.amdhsa_reserve_vcc 1
		.amdhsa_float_round_mode_32 0
		.amdhsa_float_round_mode_16_64 0
		.amdhsa_float_denorm_mode_32 3
		.amdhsa_float_denorm_mode_16_64 3
		.amdhsa_dx10_clamp 1
		.amdhsa_ieee_mode 1
		.amdhsa_fp16_overflow 0
		.amdhsa_workgroup_processor_mode 1
		.amdhsa_memory_ordered 1
		.amdhsa_forward_progress 0
		.amdhsa_shared_vgpr_count 0
		.amdhsa_exception_fp_ieee_invalid_op 0
		.amdhsa_exception_fp_denorm_src 0
		.amdhsa_exception_fp_ieee_div_zero 0
		.amdhsa_exception_fp_ieee_overflow 0
		.amdhsa_exception_fp_ieee_underflow 0
		.amdhsa_exception_fp_ieee_inexact 0
		.amdhsa_exception_int_div_zero 0
	.end_amdhsa_kernel
	.section	.text._ZN9rocsparseL51gtsv_nopivot_strided_batch_crpcr_pow2_shared_kernelILj128ELj64E21rocsparse_complex_numIdEEEviiiPKT1_S5_S5_PS3_,"axG",@progbits,_ZN9rocsparseL51gtsv_nopivot_strided_batch_crpcr_pow2_shared_kernelILj128ELj64E21rocsparse_complex_numIdEEEviiiPKT1_S5_S5_PS3_,comdat
.Lfunc_end70:
	.size	_ZN9rocsparseL51gtsv_nopivot_strided_batch_crpcr_pow2_shared_kernelILj128ELj64E21rocsparse_complex_numIdEEEviiiPKT1_S5_S5_PS3_, .Lfunc_end70-_ZN9rocsparseL51gtsv_nopivot_strided_batch_crpcr_pow2_shared_kernelILj128ELj64E21rocsparse_complex_numIdEEEviiiPKT1_S5_S5_PS3_
                                        ; -- End function
	.section	.AMDGPU.csdata,"",@progbits
; Kernel info:
; codeLenInByte = 8504
; NumSgprs: 18
; NumVgprs: 66
; ScratchSize: 0
; MemoryBound: 0
; FloatMode: 240
; IeeeMode: 1
; LDSByteSize: 25600 bytes/workgroup (compile time only)
; SGPRBlocks: 2
; VGPRBlocks: 8
; NumSGPRsForWavesPerEU: 18
; NumVGPRsForWavesPerEU: 66
; Occupancy: 5
; WaveLimiterHint : 0
; COMPUTE_PGM_RSRC2:SCRATCH_EN: 0
; COMPUTE_PGM_RSRC2:USER_SGPR: 15
; COMPUTE_PGM_RSRC2:TRAP_HANDLER: 0
; COMPUTE_PGM_RSRC2:TGID_X_EN: 1
; COMPUTE_PGM_RSRC2:TGID_Y_EN: 0
; COMPUTE_PGM_RSRC2:TGID_Z_EN: 0
; COMPUTE_PGM_RSRC2:TIDIG_COMP_CNT: 0
	.section	.text._ZN9rocsparseL51gtsv_nopivot_strided_batch_crpcr_pow2_shared_kernelILj256ELj64E21rocsparse_complex_numIdEEEviiiPKT1_S5_S5_PS3_,"axG",@progbits,_ZN9rocsparseL51gtsv_nopivot_strided_batch_crpcr_pow2_shared_kernelILj256ELj64E21rocsparse_complex_numIdEEEviiiPKT1_S5_S5_PS3_,comdat
	.globl	_ZN9rocsparseL51gtsv_nopivot_strided_batch_crpcr_pow2_shared_kernelILj256ELj64E21rocsparse_complex_numIdEEEviiiPKT1_S5_S5_PS3_ ; -- Begin function _ZN9rocsparseL51gtsv_nopivot_strided_batch_crpcr_pow2_shared_kernelILj256ELj64E21rocsparse_complex_numIdEEEviiiPKT1_S5_S5_PS3_
	.p2align	8
	.type	_ZN9rocsparseL51gtsv_nopivot_strided_batch_crpcr_pow2_shared_kernelILj256ELj64E21rocsparse_complex_numIdEEEviiiPKT1_S5_S5_PS3_,@function
_ZN9rocsparseL51gtsv_nopivot_strided_batch_crpcr_pow2_shared_kernelILj256ELj64E21rocsparse_complex_numIdEEEviiiPKT1_S5_S5_PS3_: ; @_ZN9rocsparseL51gtsv_nopivot_strided_batch_crpcr_pow2_shared_kernelILj256ELj64E21rocsparse_complex_numIdEEEviiiPKT1_S5_S5_PS3_
; %bb.0:
	s_clause 0x1
	s_load_b32 s8, s[0:1], 0x8
	s_load_b256 s[0:7], s[0:1], 0x10
	s_waitcnt lgkmcnt(0)
	v_mad_u64_u32 v[1:2], null, s15, s8, v[0:1]
	s_delay_alu instid0(VALU_DEP_1) | instskip(SKIP_1) | instid1(VALU_DEP_2)
	v_dual_mov_b32 v4, 0 :: v_dual_add_nc_u32 v3, 0x100, v1
	v_ashrrev_i32_e32 v2, 31, v1
	v_lshlrev_b64 v[3:4], 4, v[3:4]
	s_delay_alu instid0(VALU_DEP_2) | instskip(NEXT) | instid1(VALU_DEP_1)
	v_lshlrev_b64 v[1:2], 4, v[1:2]
	v_add_co_u32 v5, vcc_lo, s0, v1
	s_delay_alu instid0(VALU_DEP_2) | instskip(NEXT) | instid1(VALU_DEP_4)
	v_add_co_ci_u32_e32 v6, vcc_lo, s1, v2, vcc_lo
	v_add_co_u32 v8, vcc_lo, s0, v3
	v_add_co_ci_u32_e32 v9, vcc_lo, s1, v4, vcc_lo
	v_add_co_u32 v12, vcc_lo, s2, v1
	;; [unrolled: 2-line block ×7, first 2 shown]
	v_add_co_ci_u32_e32 v20, vcc_lo, s7, v4, vcc_lo
	s_clause 0x1
	global_load_b128 v[4:7], v[5:6], off
	global_load_b128 v[8:11], v[8:9], off
	s_clause 0x1
	global_load_b128 v[12:15], v[12:13], off
	global_load_b128 v[22:25], v[21:22], off
	;; [unrolled: 3-line block ×4, first 2 shown]
	v_lshlrev_b32_e32 v21, 4, v0
	v_add_nc_u32_e32 v3, 1, v0
	v_cmp_gt_u32_e64 s0, 0x100, v0
	s_delay_alu instid0(VALU_DEP_3)
	v_or_b32_e32 v1, 0x1000, v21
	v_or_b32_e32 v2, 0x2000, v21
	;; [unrolled: 1-line block ×7, first 2 shown]
	s_waitcnt vmcnt(7)
	ds_store_2addr_b64 v21, v[4:5], v[6:7] offset1:1
	s_waitcnt vmcnt(6)
	ds_store_2addr_b64 v1, v[8:9], v[10:11] offset1:1
	;; [unrolled: 2-line block ×8, first 2 shown]
	s_waitcnt lgkmcnt(0)
	s_barrier
	buffer_gl0_inv
	s_and_saveexec_b32 s2, s0
	s_cbranch_execz .LBB71_2
; %bb.1:
	v_lshlrev_b32_e32 v16, 5, v3
	v_lshlrev_b32_e32 v12, 1, v3
	ds_load_b128 v[4:7], v16 offset:8160
	ds_load_b128 v[8:11], v16 offset:8176
	v_min_u32_e32 v12, 0x1ff, v12
	v_add_nc_u32_e32 v64, -16, v16
	s_delay_alu instid0(VALU_DEP_2)
	v_lshlrev_b32_e32 v58, 4, v12
	ds_load_b128 v[12:15], v58 offset:8192
	ds_load_b128 v[22:25], v58 offset:16384
	s_waitcnt lgkmcnt(3)
	v_mul_f64 v[1:2], v[6:7], v[6:7]
	s_waitcnt lgkmcnt(1)
	v_mul_f64 v[26:27], v[14:15], v[14:15]
	s_delay_alu instid0(VALU_DEP_2) | instskip(NEXT) | instid1(VALU_DEP_2)
	v_fma_f64 v[1:2], v[4:5], v[4:5], v[1:2]
	v_fma_f64 v[42:43], v[12:13], v[12:13], v[26:27]
	s_delay_alu instid0(VALU_DEP_2) | instskip(SKIP_1) | instid1(VALU_DEP_3)
	v_div_scale_f64 v[26:27], null, v[1:2], v[1:2], 1.0
	v_div_scale_f64 v[38:39], vcc_lo, 1.0, v[1:2], 1.0
	v_div_scale_f64 v[34:35], null, v[42:43], v[42:43], 1.0
	v_div_scale_f64 v[44:45], s1, 1.0, v[42:43], 1.0
	s_delay_alu instid0(VALU_DEP_4) | instskip(NEXT) | instid1(VALU_DEP_2)
	v_rcp_f64_e32 v[28:29], v[26:27]
	v_rcp_f64_e32 v[30:31], v[34:35]
	s_waitcnt_depctr 0xfff
	v_fma_f64 v[32:33], -v[26:27], v[28:29], 1.0
	v_fma_f64 v[36:37], -v[34:35], v[30:31], 1.0
	s_delay_alu instid0(VALU_DEP_2) | instskip(NEXT) | instid1(VALU_DEP_2)
	v_fma_f64 v[28:29], v[28:29], v[32:33], v[28:29]
	v_fma_f64 v[30:31], v[30:31], v[36:37], v[30:31]
	s_delay_alu instid0(VALU_DEP_2) | instskip(NEXT) | instid1(VALU_DEP_2)
	v_fma_f64 v[32:33], -v[26:27], v[28:29], 1.0
	v_fma_f64 v[36:37], -v[34:35], v[30:31], 1.0
	s_delay_alu instid0(VALU_DEP_2) | instskip(NEXT) | instid1(VALU_DEP_2)
	v_fma_f64 v[40:41], v[28:29], v[32:33], v[28:29]
	v_fma_f64 v[46:47], v[30:31], v[36:37], v[30:31]
	v_subrev_nc_u32_e32 v30, 32, v16
	ds_load_b128 v[30:33], v30
	v_mul_f64 v[36:37], v[38:39], v[40:41]
	v_mul_f64 v[48:49], v[44:45], v[46:47]
	s_delay_alu instid0(VALU_DEP_2)
	v_fma_f64 v[38:39], -v[26:27], v[36:37], v[38:39]
	ds_load_b128 v[26:29], v64
	v_fma_f64 v[44:45], -v[34:35], v[48:49], v[44:45]
	s_waitcnt lgkmcnt(0)
	v_mul_f64 v[50:51], v[6:7], -v[26:27]
	v_mul_f64 v[6:7], v[6:7], v[28:29]
	v_div_fmas_f64 v[52:53], v[38:39], v[40:41], v[36:37]
	ds_load_b128 v[34:37], v16 offset:16368
	ds_load_b128 v[38:41], v16 offset:16352
	s_mov_b32 vcc_lo, s1
	v_div_fmas_f64 v[44:45], v[44:45], v[46:47], v[48:49]
	s_waitcnt lgkmcnt(1)
	v_mul_f64 v[54:55], v[14:15], -v[34:35]
	v_fma_f64 v[28:29], v[28:29], v[4:5], v[50:51]
	v_mul_f64 v[14:15], v[14:15], v[36:37]
	v_fma_f64 v[26:27], v[26:27], v[4:5], v[6:7]
	ds_load_b128 v[4:7], v16 offset:32736
	v_div_fixup_f64 v[1:2], v[52:53], v[1:2], 1.0
	v_div_fixup_f64 v[42:43], v[44:45], v[42:43], 1.0
	v_fma_f64 v[36:37], v[36:37], v[12:13], v[54:55]
	v_fma_f64 v[46:47], v[34:35], v[12:13], v[14:15]
	ds_load_b128 v[12:15], v16 offset:32752
	v_mul_f64 v[44:45], v[1:2], v[28:29]
	v_mul_f64 v[1:2], v[1:2], v[26:27]
	;; [unrolled: 1-line block ×3, first 2 shown]
	ds_load_b128 v[26:29], v58
	ds_load_b128 v[34:37], v58 offset:32768
	v_mul_f64 v[42:43], v[42:43], v[46:47]
	s_waitcnt lgkmcnt(3)
	v_mul_f64 v[50:51], v[44:45], -v[6:7]
	v_mul_f64 v[52:53], v[44:45], v[4:5]
	v_mul_f64 v[54:55], v[44:45], -v[40:41]
	v_mul_f64 v[56:57], v[44:45], v[38:39]
	s_waitcnt lgkmcnt(0)
	v_mul_f64 v[60:61], v[48:49], -v[36:37]
	v_mul_f64 v[62:63], v[48:49], v[34:35]
	v_mul_f64 v[46:47], v[48:49], -v[28:29]
	v_mul_f64 v[58:59], v[48:49], v[26:27]
	v_fma_f64 v[4:5], v[4:5], v[1:2], v[50:51]
	v_fma_f64 v[6:7], v[6:7], v[1:2], v[52:53]
	;; [unrolled: 1-line block ×4, first 2 shown]
	v_mul_f64 v[50:51], v[44:45], v[32:33]
	v_mul_f64 v[44:45], v[44:45], -v[30:31]
	v_mul_f64 v[52:53], v[48:49], v[24:25]
	v_fma_f64 v[34:35], v[34:35], v[42:43], v[60:61]
	v_fma_f64 v[36:37], v[36:37], v[42:43], v[62:63]
	;; [unrolled: 1-line block ×4, first 2 shown]
	v_add_f64 v[12:13], v[12:13], -v[4:5]
	v_add_f64 v[14:15], v[14:15], -v[6:7]
	;; [unrolled: 1-line block ×4, first 2 shown]
	v_mul_f64 v[40:41], v[48:49], -v[22:23]
	v_fma_f64 v[4:5], -v[30:31], v[1:2], v[50:51]
	v_fma_f64 v[6:7], -v[32:33], v[1:2], v[44:45]
	;; [unrolled: 1-line block ×3, first 2 shown]
	v_add_f64 v[12:13], v[12:13], -v[34:35]
	v_add_f64 v[14:15], v[14:15], -v[36:37]
	;; [unrolled: 1-line block ×4, first 2 shown]
	v_fma_f64 v[10:11], -v[24:25], v[42:43], v[40:41]
	ds_store_b128 v16, v[12:15] offset:32752
	ds_store_b128 v64, v[4:7]
	ds_store_b128 v16, v[26:29] offset:8176
	ds_store_b128 v16, v[8:11] offset:16368
.LBB71_2:
	s_or_b32 exec_lo, exec_lo, s2
	v_cmp_gt_u32_e64 s1, 0x80, v0
	s_waitcnt lgkmcnt(0)
	s_barrier
	buffer_gl0_inv
	s_and_saveexec_b32 s3, s1
	s_cbranch_execz .LBB71_4
; %bb.3:
	v_lshlrev_b32_e32 v16, 6, v3
	v_lshl_or_b32 v12, v3, 2, 1
	ds_load_b128 v[4:7], v16 offset:8144
	ds_load_b128 v[8:11], v16 offset:8176
	v_min_u32_e32 v12, 0x1ff, v12
	v_add_nc_u32_e32 v64, -16, v16
	s_delay_alu instid0(VALU_DEP_2)
	v_lshlrev_b32_e32 v58, 4, v12
	ds_load_b128 v[12:15], v58 offset:8192
	ds_load_b128 v[22:25], v58 offset:16384
	s_waitcnt lgkmcnt(3)
	v_mul_f64 v[1:2], v[6:7], v[6:7]
	s_waitcnt lgkmcnt(1)
	v_mul_f64 v[26:27], v[14:15], v[14:15]
	s_delay_alu instid0(VALU_DEP_2) | instskip(NEXT) | instid1(VALU_DEP_2)
	v_fma_f64 v[1:2], v[4:5], v[4:5], v[1:2]
	v_fma_f64 v[42:43], v[12:13], v[12:13], v[26:27]
	s_delay_alu instid0(VALU_DEP_2) | instskip(SKIP_1) | instid1(VALU_DEP_3)
	v_div_scale_f64 v[26:27], null, v[1:2], v[1:2], 1.0
	v_div_scale_f64 v[38:39], vcc_lo, 1.0, v[1:2], 1.0
	v_div_scale_f64 v[34:35], null, v[42:43], v[42:43], 1.0
	v_div_scale_f64 v[44:45], s2, 1.0, v[42:43], 1.0
	s_delay_alu instid0(VALU_DEP_4) | instskip(NEXT) | instid1(VALU_DEP_2)
	v_rcp_f64_e32 v[28:29], v[26:27]
	v_rcp_f64_e32 v[30:31], v[34:35]
	s_waitcnt_depctr 0xfff
	v_fma_f64 v[32:33], -v[26:27], v[28:29], 1.0
	v_fma_f64 v[36:37], -v[34:35], v[30:31], 1.0
	s_delay_alu instid0(VALU_DEP_2) | instskip(NEXT) | instid1(VALU_DEP_2)
	v_fma_f64 v[28:29], v[28:29], v[32:33], v[28:29]
	v_fma_f64 v[30:31], v[30:31], v[36:37], v[30:31]
	s_delay_alu instid0(VALU_DEP_2) | instskip(NEXT) | instid1(VALU_DEP_2)
	v_fma_f64 v[32:33], -v[26:27], v[28:29], 1.0
	v_fma_f64 v[36:37], -v[34:35], v[30:31], 1.0
	s_delay_alu instid0(VALU_DEP_2) | instskip(NEXT) | instid1(VALU_DEP_2)
	v_fma_f64 v[40:41], v[28:29], v[32:33], v[28:29]
	v_fma_f64 v[46:47], v[30:31], v[36:37], v[30:31]
	v_subrev_nc_u32_e32 v30, 48, v16
	ds_load_b128 v[30:33], v30
	v_mul_f64 v[36:37], v[38:39], v[40:41]
	v_mul_f64 v[48:49], v[44:45], v[46:47]
	s_delay_alu instid0(VALU_DEP_2)
	v_fma_f64 v[38:39], -v[26:27], v[36:37], v[38:39]
	ds_load_b128 v[26:29], v64
	v_fma_f64 v[44:45], -v[34:35], v[48:49], v[44:45]
	s_waitcnt lgkmcnt(0)
	v_mul_f64 v[50:51], v[6:7], -v[26:27]
	v_mul_f64 v[6:7], v[6:7], v[28:29]
	v_div_fmas_f64 v[52:53], v[38:39], v[40:41], v[36:37]
	ds_load_b128 v[34:37], v16 offset:16368
	ds_load_b128 v[38:41], v16 offset:16336
	s_mov_b32 vcc_lo, s2
	v_div_fmas_f64 v[44:45], v[44:45], v[46:47], v[48:49]
	s_waitcnt lgkmcnt(1)
	v_mul_f64 v[54:55], v[14:15], -v[34:35]
	v_fma_f64 v[28:29], v[28:29], v[4:5], v[50:51]
	v_mul_f64 v[14:15], v[14:15], v[36:37]
	v_fma_f64 v[26:27], v[26:27], v[4:5], v[6:7]
	ds_load_b128 v[4:7], v16 offset:32720
	v_div_fixup_f64 v[1:2], v[52:53], v[1:2], 1.0
	v_div_fixup_f64 v[42:43], v[44:45], v[42:43], 1.0
	v_fma_f64 v[36:37], v[36:37], v[12:13], v[54:55]
	v_fma_f64 v[46:47], v[34:35], v[12:13], v[14:15]
	ds_load_b128 v[12:15], v16 offset:32752
	v_mul_f64 v[44:45], v[1:2], v[28:29]
	v_mul_f64 v[1:2], v[1:2], v[26:27]
	;; [unrolled: 1-line block ×3, first 2 shown]
	ds_load_b128 v[26:29], v58
	ds_load_b128 v[34:37], v58 offset:32768
	v_mul_f64 v[42:43], v[42:43], v[46:47]
	s_waitcnt lgkmcnt(3)
	v_mul_f64 v[50:51], v[44:45], -v[6:7]
	v_mul_f64 v[52:53], v[44:45], v[4:5]
	v_mul_f64 v[54:55], v[44:45], -v[40:41]
	v_mul_f64 v[56:57], v[44:45], v[38:39]
	s_waitcnt lgkmcnt(0)
	v_mul_f64 v[60:61], v[48:49], -v[36:37]
	v_mul_f64 v[62:63], v[48:49], v[34:35]
	v_mul_f64 v[46:47], v[48:49], -v[28:29]
	v_mul_f64 v[58:59], v[48:49], v[26:27]
	v_fma_f64 v[4:5], v[4:5], v[1:2], v[50:51]
	v_fma_f64 v[6:7], v[6:7], v[1:2], v[52:53]
	;; [unrolled: 1-line block ×4, first 2 shown]
	v_mul_f64 v[50:51], v[44:45], v[32:33]
	v_mul_f64 v[44:45], v[44:45], -v[30:31]
	v_mul_f64 v[52:53], v[48:49], v[24:25]
	v_fma_f64 v[34:35], v[34:35], v[42:43], v[60:61]
	v_fma_f64 v[36:37], v[36:37], v[42:43], v[62:63]
	;; [unrolled: 1-line block ×4, first 2 shown]
	v_add_f64 v[12:13], v[12:13], -v[4:5]
	v_add_f64 v[14:15], v[14:15], -v[6:7]
	;; [unrolled: 1-line block ×4, first 2 shown]
	v_mul_f64 v[40:41], v[48:49], -v[22:23]
	v_fma_f64 v[4:5], -v[30:31], v[1:2], v[50:51]
	v_fma_f64 v[6:7], -v[32:33], v[1:2], v[44:45]
	;; [unrolled: 1-line block ×3, first 2 shown]
	v_add_f64 v[12:13], v[12:13], -v[34:35]
	v_add_f64 v[14:15], v[14:15], -v[36:37]
	;; [unrolled: 1-line block ×4, first 2 shown]
	v_fma_f64 v[10:11], -v[24:25], v[42:43], v[40:41]
	ds_store_b128 v16, v[12:15] offset:32752
	ds_store_b128 v64, v[4:7]
	ds_store_b128 v16, v[26:29] offset:8176
	ds_store_b128 v16, v[8:11] offset:16368
.LBB71_4:
	s_or_b32 exec_lo, exec_lo, s3
	v_cmp_gt_u32_e64 s2, 64, v0
	v_lshlrev_b32_e32 v22, 7, v3
	s_waitcnt lgkmcnt(0)
	s_barrier
	buffer_gl0_inv
	s_and_saveexec_b32 s4, s2
	s_cbranch_execz .LBB71_6
; %bb.5:
	ds_load_b128 v[4:7], v22 offset:8112
	ds_load_b128 v[8:11], v22 offset:8176
	v_lshl_or_b32 v12, v3, 3, 3
	v_add_nc_u32_e32 v65, -16, v22
	s_delay_alu instid0(VALU_DEP_2) | instskip(NEXT) | instid1(VALU_DEP_1)
	v_min_u32_e32 v12, 0x1ff, v12
	v_lshlrev_b32_e32 v16, 4, v12
	ds_load_b128 v[12:15], v16 offset:8192
	ds_load_b128 v[23:26], v16 offset:16384
	s_waitcnt lgkmcnt(3)
	v_mul_f64 v[1:2], v[6:7], v[6:7]
	s_waitcnt lgkmcnt(1)
	v_mul_f64 v[27:28], v[14:15], v[14:15]
	s_delay_alu instid0(VALU_DEP_2) | instskip(NEXT) | instid1(VALU_DEP_2)
	v_fma_f64 v[1:2], v[4:5], v[4:5], v[1:2]
	v_fma_f64 v[43:44], v[12:13], v[12:13], v[27:28]
	s_delay_alu instid0(VALU_DEP_2) | instskip(SKIP_1) | instid1(VALU_DEP_3)
	v_div_scale_f64 v[27:28], null, v[1:2], v[1:2], 1.0
	v_div_scale_f64 v[39:40], vcc_lo, 1.0, v[1:2], 1.0
	v_div_scale_f64 v[35:36], null, v[43:44], v[43:44], 1.0
	v_div_scale_f64 v[45:46], s3, 1.0, v[43:44], 1.0
	s_delay_alu instid0(VALU_DEP_4) | instskip(NEXT) | instid1(VALU_DEP_2)
	v_rcp_f64_e32 v[29:30], v[27:28]
	v_rcp_f64_e32 v[31:32], v[35:36]
	s_waitcnt_depctr 0xfff
	v_fma_f64 v[33:34], -v[27:28], v[29:30], 1.0
	v_fma_f64 v[37:38], -v[35:36], v[31:32], 1.0
	s_delay_alu instid0(VALU_DEP_2) | instskip(NEXT) | instid1(VALU_DEP_2)
	v_fma_f64 v[29:30], v[29:30], v[33:34], v[29:30]
	v_fma_f64 v[31:32], v[31:32], v[37:38], v[31:32]
	s_delay_alu instid0(VALU_DEP_2) | instskip(NEXT) | instid1(VALU_DEP_2)
	v_fma_f64 v[33:34], -v[27:28], v[29:30], 1.0
	v_fma_f64 v[37:38], -v[35:36], v[31:32], 1.0
	s_delay_alu instid0(VALU_DEP_2) | instskip(NEXT) | instid1(VALU_DEP_2)
	v_fma_f64 v[41:42], v[29:30], v[33:34], v[29:30]
	v_fma_f64 v[47:48], v[31:32], v[37:38], v[31:32]
	v_add_nc_u32_e32 v31, 0xffffffb0, v22
	ds_load_b128 v[31:34], v31
	v_mul_f64 v[37:38], v[39:40], v[41:42]
	v_mul_f64 v[49:50], v[45:46], v[47:48]
	s_delay_alu instid0(VALU_DEP_2)
	v_fma_f64 v[39:40], -v[27:28], v[37:38], v[39:40]
	ds_load_b128 v[27:30], v65
	v_fma_f64 v[45:46], -v[35:36], v[49:50], v[45:46]
	s_waitcnt lgkmcnt(0)
	v_mul_f64 v[51:52], v[6:7], -v[27:28]
	v_mul_f64 v[6:7], v[6:7], v[29:30]
	v_div_fmas_f64 v[53:54], v[39:40], v[41:42], v[37:38]
	ds_load_b128 v[35:38], v22 offset:16368
	ds_load_b128 v[39:42], v22 offset:16304
	s_mov_b32 vcc_lo, s3
	v_div_fmas_f64 v[45:46], v[45:46], v[47:48], v[49:50]
	s_waitcnt lgkmcnt(1)
	v_mul_f64 v[55:56], v[14:15], -v[35:36]
	v_fma_f64 v[29:30], v[29:30], v[4:5], v[51:52]
	v_mul_f64 v[14:15], v[14:15], v[37:38]
	v_fma_f64 v[27:28], v[27:28], v[4:5], v[6:7]
	ds_load_b128 v[4:7], v22 offset:32688
	v_div_fixup_f64 v[1:2], v[53:54], v[1:2], 1.0
	v_div_fixup_f64 v[43:44], v[45:46], v[43:44], 1.0
	v_fma_f64 v[37:38], v[37:38], v[12:13], v[55:56]
	v_fma_f64 v[47:48], v[35:36], v[12:13], v[14:15]
	ds_load_b128 v[12:15], v22 offset:32752
	v_mul_f64 v[45:46], v[1:2], v[29:30]
	v_mul_f64 v[1:2], v[1:2], v[27:28]
	;; [unrolled: 1-line block ×3, first 2 shown]
	ds_load_b128 v[27:30], v16
	ds_load_b128 v[35:38], v16 offset:32768
	v_mul_f64 v[43:44], v[43:44], v[47:48]
	s_waitcnt lgkmcnt(4)
	v_mul_f64 v[51:52], v[45:46], -v[41:42]
	v_mul_f64 v[53:54], v[45:46], v[39:40]
	s_waitcnt lgkmcnt(3)
	v_mul_f64 v[55:56], v[45:46], -v[6:7]
	;; [unrolled: 3-line block ×4, first 2 shown]
	v_mul_f64 v[63:64], v[49:50], v[35:36]
	v_fma_f64 v[39:40], v[39:40], v[1:2], v[51:52]
	v_fma_f64 v[41:42], v[41:42], v[1:2], v[53:54]
	;; [unrolled: 1-line block ×4, first 2 shown]
	v_mul_f64 v[51:52], v[45:46], v[33:34]
	v_mul_f64 v[45:46], v[45:46], -v[31:32]
	v_mul_f64 v[53:54], v[49:50], v[25:26]
	v_mul_f64 v[49:50], v[49:50], -v[23:24]
	v_fma_f64 v[27:28], v[27:28], v[43:44], v[47:48]
	v_fma_f64 v[29:30], v[29:30], v[43:44], v[59:60]
	v_fma_f64 v[35:36], v[35:36], v[43:44], v[61:62]
	v_fma_f64 v[37:38], v[37:38], v[43:44], v[63:64]
	v_add_f64 v[39:40], v[8:9], -v[39:40]
	v_add_f64 v[10:11], v[10:11], -v[41:42]
	;; [unrolled: 1-line block ×4, first 2 shown]
	v_fma_f64 v[4:5], -v[31:32], v[1:2], v[51:52]
	v_fma_f64 v[6:7], -v[33:34], v[1:2], v[45:46]
	;; [unrolled: 1-line block ×3, first 2 shown]
	v_add_f64 v[12:13], v[39:40], -v[27:28]
	v_add_f64 v[14:15], v[10:11], -v[29:30]
	;; [unrolled: 1-line block ×4, first 2 shown]
	v_fma_f64 v[10:11], -v[25:26], v[43:44], v[49:50]
	ds_store_b128 v22, v[12:15] offset:8176
	ds_store_b128 v65, v[4:7]
	ds_store_b128 v22, v[27:30] offset:32752
	ds_store_b128 v22, v[8:11] offset:16368
.LBB71_6:
	s_or_b32 exec_lo, exec_lo, s4
	s_waitcnt lgkmcnt(0)
	s_barrier
	buffer_gl0_inv
	s_and_saveexec_b32 s3, s2
	s_cbranch_execz .LBB71_8
; %bb.7:
	v_add_nc_u32_e32 v1, -16, v22
	ds_load_b128 v[4:7], v1
	ds_load_b128 v[8:11], v22 offset:8176
	ds_load_b128 v[12:15], v22 offset:16368
	;; [unrolled: 1-line block ×3, first 2 shown]
	s_waitcnt lgkmcnt(3)
	ds_store_b128 v21, v[4:7] offset:40960
	s_waitcnt lgkmcnt(3)
	ds_store_b128 v21, v[8:11] offset:41984
	;; [unrolled: 2-line block ×4, first 2 shown]
.LBB71_8:
	s_or_b32 exec_lo, exec_lo, s3
	v_or_b32_e32 v25, 0xa000, v21
	v_add_nc_u32_e32 v24, 0xa800, v21
	v_add_nc_u32_e32 v26, 0xa400, v21
	v_or_b32_e32 v23, 0xb000, v21
	s_waitcnt lgkmcnt(0)
	s_barrier
	buffer_gl0_inv
                                        ; implicit-def: $vgpr9_vgpr10
                                        ; implicit-def: $vgpr1_vgpr2
                                        ; implicit-def: $vgpr13_vgpr14
                                        ; implicit-def: $vgpr5_vgpr6
	s_and_saveexec_b32 s4, s2
	s_cbranch_execz .LBB71_10
; %bb.9:
	v_max_u32_e32 v1, 1, v0
	v_min_u32_e32 v3, 63, v3
	s_delay_alu instid0(VALU_DEP_2) | instskip(NEXT) | instid1(VALU_DEP_2)
	v_lshlrev_b32_e32 v16, 4, v1
	v_lshlrev_b32_e32 v55, 4, v3
	ds_load_b128 v[4:7], v16 offset:41968
	ds_load_b128 v[8:11], v16 offset:40944
	;; [unrolled: 1-line block ×4, first 2 shown]
	s_waitcnt lgkmcnt(3)
	v_mul_f64 v[1:2], v[6:7], v[6:7]
	s_waitcnt lgkmcnt(1)
	v_mul_f64 v[31:32], v[14:15], v[14:15]
	s_delay_alu instid0(VALU_DEP_2) | instskip(NEXT) | instid1(VALU_DEP_2)
	v_fma_f64 v[1:2], v[4:5], v[4:5], v[1:2]
	v_fma_f64 v[39:40], v[12:13], v[12:13], v[31:32]
	s_delay_alu instid0(VALU_DEP_2) | instskip(NEXT) | instid1(VALU_DEP_2)
	v_div_scale_f64 v[31:32], null, v[1:2], v[1:2], 1.0
	v_div_scale_f64 v[41:42], null, v[39:40], v[39:40], 1.0
	v_div_scale_f64 v[45:46], vcc_lo, 1.0, v[1:2], 1.0
	v_div_scale_f64 v[49:50], s3, 1.0, v[39:40], 1.0
	s_delay_alu instid0(VALU_DEP_4) | instskip(NEXT) | instid1(VALU_DEP_3)
	v_rcp_f64_e32 v[33:34], v[31:32]
	v_rcp_f64_e32 v[35:36], v[41:42]
	s_waitcnt_depctr 0xfff
	v_fma_f64 v[37:38], -v[31:32], v[33:34], 1.0
	v_fma_f64 v[43:44], -v[41:42], v[35:36], 1.0
	s_delay_alu instid0(VALU_DEP_2) | instskip(NEXT) | instid1(VALU_DEP_2)
	v_fma_f64 v[33:34], v[33:34], v[37:38], v[33:34]
	v_fma_f64 v[35:36], v[35:36], v[43:44], v[35:36]
	s_delay_alu instid0(VALU_DEP_2) | instskip(NEXT) | instid1(VALU_DEP_2)
	v_fma_f64 v[37:38], -v[31:32], v[33:34], 1.0
	v_fma_f64 v[43:44], -v[41:42], v[35:36], 1.0
	s_delay_alu instid0(VALU_DEP_2) | instskip(NEXT) | instid1(VALU_DEP_2)
	v_fma_f64 v[47:48], v[33:34], v[37:38], v[33:34]
	v_fma_f64 v[43:44], v[35:36], v[43:44], v[35:36]
	s_delay_alu instid0(VALU_DEP_2) | instskip(NEXT) | instid1(VALU_DEP_2)
	v_mul_f64 v[51:52], v[45:46], v[47:48]
	v_mul_f64 v[53:54], v[49:50], v[43:44]
	s_delay_alu instid0(VALU_DEP_2)
	v_fma_f64 v[45:46], -v[31:32], v[51:52], v[45:46]
	ds_load_b128 v[31:34], v25
	ds_load_b128 v[35:38], v24
	v_fma_f64 v[41:42], -v[41:42], v[53:54], v[49:50]
	s_waitcnt lgkmcnt(1)
	v_mul_f64 v[49:50], v[6:7], -v[31:32]
	v_mul_f64 v[6:7], v[6:7], v[33:34]
	v_div_fmas_f64 v[45:46], v[45:46], v[47:48], v[51:52]
	s_mov_b32 vcc_lo, s3
	s_waitcnt lgkmcnt(0)
	v_mul_f64 v[47:48], v[14:15], -v[35:36]
	v_div_fmas_f64 v[41:42], v[41:42], v[43:44], v[53:54]
	v_mul_f64 v[14:15], v[14:15], v[37:38]
	v_fma_f64 v[33:34], v[33:34], v[4:5], v[49:50]
	v_fma_f64 v[5:6], v[31:32], v[4:5], v[6:7]
	v_div_fixup_f64 v[43:44], v[45:46], v[1:2], 1.0
	v_fma_f64 v[37:38], v[37:38], v[12:13], v[47:48]
	v_div_fixup_f64 v[39:40], v[41:42], v[39:40], 1.0
	v_fma_f64 v[45:46], v[35:36], v[12:13], v[14:15]
	s_delay_alu instid0(VALU_DEP_4)
	v_mul_f64 v[41:42], v[43:44], v[33:34]
	ds_load_b128 v[1:4], v16 offset:42992
	ds_load_b128 v[31:34], v16 offset:45040
	v_mul_f64 v[43:44], v[43:44], v[5:6]
	v_mul_f64 v[47:48], v[39:40], v[37:38]
	ds_load_b128 v[12:15], v55 offset:45056
	ds_load_b128 v[35:38], v55 offset:43008
	v_mul_f64 v[39:40], v[39:40], v[45:46]
	s_waitcnt lgkmcnt(3)
	v_mul_f64 v[5:6], v[41:42], -v[3:4]
	v_mul_f64 v[49:50], v[41:42], v[1:2]
	s_waitcnt lgkmcnt(2)
	v_mul_f64 v[51:52], v[41:42], -v[33:34]
	v_mul_f64 v[53:54], v[41:42], v[31:32]
	v_mul_f64 v[45:46], v[47:48], -v[29:30]
	v_mul_f64 v[55:56], v[47:48], v[27:28]
	s_waitcnt lgkmcnt(1)
	v_mul_f64 v[57:58], v[47:48], -v[14:15]
	v_mul_f64 v[59:60], v[47:48], v[12:13]
	v_mul_f64 v[61:62], v[41:42], v[10:11]
	v_mul_f64 v[41:42], v[41:42], -v[8:9]
	s_waitcnt lgkmcnt(0)
	v_mul_f64 v[63:64], v[47:48], v[37:38]
	v_mul_f64 v[47:48], v[47:48], -v[35:36]
	v_fma_f64 v[5:6], v[1:2], v[43:44], v[5:6]
	v_fma_f64 v[49:50], v[3:4], v[43:44], v[49:50]
	;; [unrolled: 1-line block ×4, first 2 shown]
	ds_load_b128 v[1:4], v26
	ds_load_b128 v[31:34], v23
	v_fma_f64 v[27:28], v[27:28], v[39:40], v[45:46]
	v_fma_f64 v[29:30], v[29:30], v[39:40], v[55:56]
	;; [unrolled: 1-line block ×4, first 2 shown]
	s_waitcnt lgkmcnt(1)
	v_add_f64 v[12:13], v[1:2], -v[5:6]
	v_add_f64 v[3:4], v[3:4], -v[49:50]
	s_waitcnt lgkmcnt(0)
	v_add_f64 v[31:32], v[31:32], -v[51:52]
	v_add_f64 v[33:34], v[33:34], -v[53:54]
	v_fma_f64 v[5:6], -v[8:9], v[43:44], v[61:62]
	v_fma_f64 v[7:8], -v[10:11], v[43:44], v[41:42]
	;; [unrolled: 1-line block ×3, first 2 shown]
	v_add_f64 v[13:14], v[12:13], -v[27:28]
	v_add_f64 v[15:16], v[3:4], -v[29:30]
	;; [unrolled: 1-line block ×4, first 2 shown]
	v_fma_f64 v[3:4], -v[37:38], v[39:40], v[47:48]
.LBB71_10:
	s_or_b32 exec_lo, exec_lo, s4
	s_barrier
	buffer_gl0_inv
	s_and_saveexec_b32 s3, s2
	s_cbranch_execz .LBB71_12
; %bb.11:
	ds_store_b128 v26, v[13:16]
	ds_store_b128 v23, v[9:12]
	ds_store_b128 v25, v[5:8]
	ds_store_b128 v24, v[1:4]
.LBB71_12:
	s_or_b32 exec_lo, exec_lo, s3
	s_waitcnt lgkmcnt(0)
	s_barrier
	buffer_gl0_inv
	s_and_saveexec_b32 s4, s2
	s_cbranch_execz .LBB71_14
; %bb.13:
	v_max_u32_e32 v1, 2, v0
	v_min_u32_e32 v9, 61, v0
	s_delay_alu instid0(VALU_DEP_2) | instskip(NEXT) | instid1(VALU_DEP_2)
	v_lshlrev_b32_e32 v53, 4, v1
	v_lshlrev_b32_e32 v54, 4, v9
	ds_load_b128 v[1:4], v53 offset:41952
	ds_load_b128 v[5:8], v53 offset:40928
	;; [unrolled: 1-line block ×4, first 2 shown]
	s_waitcnt lgkmcnt(3)
	v_mul_f64 v[27:28], v[3:4], v[3:4]
	s_waitcnt lgkmcnt(1)
	v_mul_f64 v[29:30], v[11:12], v[11:12]
	s_delay_alu instid0(VALU_DEP_2) | instskip(NEXT) | instid1(VALU_DEP_2)
	v_fma_f64 v[35:36], v[1:2], v[1:2], v[27:28]
	v_fma_f64 v[37:38], v[9:10], v[9:10], v[29:30]
	s_delay_alu instid0(VALU_DEP_2) | instskip(NEXT) | instid1(VALU_DEP_2)
	v_div_scale_f64 v[27:28], null, v[35:36], v[35:36], 1.0
	v_div_scale_f64 v[39:40], null, v[37:38], v[37:38], 1.0
	v_div_scale_f64 v[43:44], vcc_lo, 1.0, v[35:36], 1.0
	v_div_scale_f64 v[47:48], s3, 1.0, v[37:38], 1.0
	s_delay_alu instid0(VALU_DEP_4) | instskip(NEXT) | instid1(VALU_DEP_3)
	v_rcp_f64_e32 v[29:30], v[27:28]
	v_rcp_f64_e32 v[31:32], v[39:40]
	s_waitcnt_depctr 0xfff
	v_fma_f64 v[33:34], -v[27:28], v[29:30], 1.0
	v_fma_f64 v[41:42], -v[39:40], v[31:32], 1.0
	s_delay_alu instid0(VALU_DEP_2) | instskip(NEXT) | instid1(VALU_DEP_2)
	v_fma_f64 v[29:30], v[29:30], v[33:34], v[29:30]
	v_fma_f64 v[31:32], v[31:32], v[41:42], v[31:32]
	s_delay_alu instid0(VALU_DEP_2) | instskip(NEXT) | instid1(VALU_DEP_2)
	v_fma_f64 v[33:34], -v[27:28], v[29:30], 1.0
	v_fma_f64 v[41:42], -v[39:40], v[31:32], 1.0
	s_delay_alu instid0(VALU_DEP_2) | instskip(NEXT) | instid1(VALU_DEP_2)
	v_fma_f64 v[45:46], v[29:30], v[33:34], v[29:30]
	v_fma_f64 v[41:42], v[31:32], v[41:42], v[31:32]
	s_delay_alu instid0(VALU_DEP_2) | instskip(NEXT) | instid1(VALU_DEP_2)
	v_mul_f64 v[49:50], v[43:44], v[45:46]
	v_mul_f64 v[51:52], v[47:48], v[41:42]
	s_delay_alu instid0(VALU_DEP_2)
	v_fma_f64 v[43:44], -v[27:28], v[49:50], v[43:44]
	ds_load_b128 v[27:30], v25
	ds_load_b128 v[31:34], v24
	v_fma_f64 v[39:40], -v[39:40], v[51:52], v[47:48]
	s_waitcnt lgkmcnt(1)
	v_mul_f64 v[47:48], v[3:4], -v[27:28]
	v_mul_f64 v[3:4], v[3:4], v[29:30]
	v_div_fmas_f64 v[43:44], v[43:44], v[45:46], v[49:50]
	s_mov_b32 vcc_lo, s3
	s_waitcnt lgkmcnt(0)
	v_mul_f64 v[45:46], v[11:12], -v[31:32]
	v_div_fmas_f64 v[39:40], v[39:40], v[41:42], v[51:52]
	v_mul_f64 v[11:12], v[11:12], v[33:34]
	v_fma_f64 v[29:30], v[29:30], v[1:2], v[47:48]
	v_div_fixup_f64 v[35:36], v[43:44], v[35:36], 1.0
	v_fma_f64 v[33:34], v[33:34], v[9:10], v[45:46]
	v_div_fixup_f64 v[37:38], v[39:40], v[37:38], 1.0
	v_fma_f64 v[39:40], v[27:28], v[1:2], v[3:4]
	v_fma_f64 v[43:44], v[31:32], v[9:10], v[11:12]
	v_mul_f64 v[41:42], v[35:36], v[29:30]
	ds_load_b128 v[1:4], v53 offset:42976
	ds_load_b128 v[27:30], v53 offset:45024
	v_mul_f64 v[45:46], v[37:38], v[33:34]
	v_mul_f64 v[35:36], v[35:36], v[39:40]
	ds_load_b128 v[9:12], v54 offset:45088
	ds_load_b128 v[31:34], v54 offset:43040
	v_mul_f64 v[37:38], v[37:38], v[43:44]
	s_waitcnt lgkmcnt(3)
	v_mul_f64 v[39:40], v[41:42], -v[3:4]
	v_mul_f64 v[47:48], v[41:42], v[1:2]
	s_waitcnt lgkmcnt(2)
	v_mul_f64 v[49:50], v[41:42], -v[29:30]
	v_mul_f64 v[51:52], v[41:42], v[27:28]
	v_mul_f64 v[43:44], v[45:46], -v[15:16]
	v_mul_f64 v[53:54], v[45:46], v[13:14]
	s_waitcnt lgkmcnt(1)
	v_mul_f64 v[55:56], v[45:46], -v[11:12]
	v_mul_f64 v[57:58], v[45:46], v[9:10]
	v_mul_f64 v[59:60], v[41:42], v[7:8]
	v_mul_f64 v[41:42], v[41:42], -v[5:6]
	s_waitcnt lgkmcnt(0)
	v_mul_f64 v[61:62], v[45:46], v[33:34]
	v_fma_f64 v[39:40], v[1:2], v[35:36], v[39:40]
	v_fma_f64 v[47:48], v[3:4], v[35:36], v[47:48]
	;; [unrolled: 1-line block ×4, first 2 shown]
	ds_load_b128 v[1:4], v26
	ds_load_b128 v[27:30], v23
	v_fma_f64 v[13:14], v[13:14], v[37:38], v[43:44]
	v_fma_f64 v[15:16], v[15:16], v[37:38], v[53:54]
	;; [unrolled: 1-line block ×4, first 2 shown]
	v_mul_f64 v[43:44], v[45:46], -v[31:32]
	v_fma_f64 v[5:6], -v[5:6], v[35:36], v[59:60]
	v_fma_f64 v[7:8], -v[7:8], v[35:36], v[41:42]
	s_waitcnt lgkmcnt(1)
	v_add_f64 v[39:40], v[1:2], -v[39:40]
	v_add_f64 v[3:4], v[3:4], -v[47:48]
	s_waitcnt lgkmcnt(0)
	v_add_f64 v[27:28], v[27:28], -v[49:50]
	v_add_f64 v[29:30], v[29:30], -v[51:52]
	v_fma_f64 v[1:2], -v[31:32], v[37:38], v[61:62]
	v_add_f64 v[13:14], v[39:40], -v[13:14]
	v_add_f64 v[15:16], v[3:4], -v[15:16]
	;; [unrolled: 1-line block ×4, first 2 shown]
	v_fma_f64 v[3:4], -v[33:34], v[37:38], v[43:44]
.LBB71_14:
	s_or_b32 exec_lo, exec_lo, s4
	s_barrier
	buffer_gl0_inv
	s_and_saveexec_b32 s3, s2
	s_cbranch_execz .LBB71_16
; %bb.15:
	ds_store_b128 v26, v[13:16]
	ds_store_b128 v23, v[9:12]
	;; [unrolled: 1-line block ×4, first 2 shown]
.LBB71_16:
	s_or_b32 exec_lo, exec_lo, s3
	s_waitcnt lgkmcnt(0)
	s_barrier
	buffer_gl0_inv
	s_and_saveexec_b32 s4, s2
	s_cbranch_execz .LBB71_18
; %bb.17:
	v_max_u32_e32 v1, 4, v0
	v_min_u32_e32 v9, 59, v0
	s_delay_alu instid0(VALU_DEP_2) | instskip(NEXT) | instid1(VALU_DEP_2)
	v_lshlrev_b32_e32 v53, 4, v1
	v_lshlrev_b32_e32 v54, 4, v9
	ds_load_b128 v[1:4], v53 offset:41920
	ds_load_b128 v[5:8], v53 offset:40896
	;; [unrolled: 1-line block ×4, first 2 shown]
	s_waitcnt lgkmcnt(3)
	v_mul_f64 v[27:28], v[3:4], v[3:4]
	s_waitcnt lgkmcnt(1)
	v_mul_f64 v[29:30], v[11:12], v[11:12]
	s_delay_alu instid0(VALU_DEP_2) | instskip(NEXT) | instid1(VALU_DEP_2)
	v_fma_f64 v[35:36], v[1:2], v[1:2], v[27:28]
	v_fma_f64 v[37:38], v[9:10], v[9:10], v[29:30]
	s_delay_alu instid0(VALU_DEP_2) | instskip(NEXT) | instid1(VALU_DEP_2)
	v_div_scale_f64 v[27:28], null, v[35:36], v[35:36], 1.0
	v_div_scale_f64 v[39:40], null, v[37:38], v[37:38], 1.0
	v_div_scale_f64 v[43:44], vcc_lo, 1.0, v[35:36], 1.0
	v_div_scale_f64 v[47:48], s3, 1.0, v[37:38], 1.0
	s_delay_alu instid0(VALU_DEP_4) | instskip(NEXT) | instid1(VALU_DEP_3)
	v_rcp_f64_e32 v[29:30], v[27:28]
	v_rcp_f64_e32 v[31:32], v[39:40]
	s_waitcnt_depctr 0xfff
	v_fma_f64 v[33:34], -v[27:28], v[29:30], 1.0
	v_fma_f64 v[41:42], -v[39:40], v[31:32], 1.0
	s_delay_alu instid0(VALU_DEP_2) | instskip(NEXT) | instid1(VALU_DEP_2)
	v_fma_f64 v[29:30], v[29:30], v[33:34], v[29:30]
	v_fma_f64 v[31:32], v[31:32], v[41:42], v[31:32]
	s_delay_alu instid0(VALU_DEP_2) | instskip(NEXT) | instid1(VALU_DEP_2)
	v_fma_f64 v[33:34], -v[27:28], v[29:30], 1.0
	v_fma_f64 v[41:42], -v[39:40], v[31:32], 1.0
	s_delay_alu instid0(VALU_DEP_2) | instskip(NEXT) | instid1(VALU_DEP_2)
	v_fma_f64 v[45:46], v[29:30], v[33:34], v[29:30]
	v_fma_f64 v[41:42], v[31:32], v[41:42], v[31:32]
	s_delay_alu instid0(VALU_DEP_2) | instskip(NEXT) | instid1(VALU_DEP_2)
	v_mul_f64 v[49:50], v[43:44], v[45:46]
	v_mul_f64 v[51:52], v[47:48], v[41:42]
	s_delay_alu instid0(VALU_DEP_2)
	v_fma_f64 v[43:44], -v[27:28], v[49:50], v[43:44]
	ds_load_b128 v[27:30], v25
	ds_load_b128 v[31:34], v24
	v_fma_f64 v[39:40], -v[39:40], v[51:52], v[47:48]
	s_waitcnt lgkmcnt(1)
	v_mul_f64 v[47:48], v[3:4], -v[27:28]
	v_mul_f64 v[3:4], v[3:4], v[29:30]
	v_div_fmas_f64 v[43:44], v[43:44], v[45:46], v[49:50]
	s_mov_b32 vcc_lo, s3
	s_waitcnt lgkmcnt(0)
	v_mul_f64 v[45:46], v[11:12], -v[31:32]
	v_div_fmas_f64 v[39:40], v[39:40], v[41:42], v[51:52]
	v_mul_f64 v[11:12], v[11:12], v[33:34]
	v_fma_f64 v[29:30], v[29:30], v[1:2], v[47:48]
	v_div_fixup_f64 v[35:36], v[43:44], v[35:36], 1.0
	v_fma_f64 v[33:34], v[33:34], v[9:10], v[45:46]
	v_div_fixup_f64 v[37:38], v[39:40], v[37:38], 1.0
	v_fma_f64 v[39:40], v[27:28], v[1:2], v[3:4]
	v_fma_f64 v[43:44], v[31:32], v[9:10], v[11:12]
	v_mul_f64 v[41:42], v[35:36], v[29:30]
	ds_load_b128 v[1:4], v53 offset:42944
	ds_load_b128 v[27:30], v53 offset:44992
	v_mul_f64 v[45:46], v[37:38], v[33:34]
	v_mul_f64 v[35:36], v[35:36], v[39:40]
	ds_load_b128 v[9:12], v54 offset:45120
	ds_load_b128 v[31:34], v54 offset:43072
	v_mul_f64 v[37:38], v[37:38], v[43:44]
	s_waitcnt lgkmcnt(3)
	v_mul_f64 v[39:40], v[41:42], -v[3:4]
	v_mul_f64 v[47:48], v[41:42], v[1:2]
	s_waitcnt lgkmcnt(2)
	v_mul_f64 v[49:50], v[41:42], -v[29:30]
	v_mul_f64 v[51:52], v[41:42], v[27:28]
	v_mul_f64 v[43:44], v[45:46], -v[15:16]
	v_mul_f64 v[53:54], v[45:46], v[13:14]
	s_waitcnt lgkmcnt(1)
	v_mul_f64 v[55:56], v[45:46], -v[11:12]
	v_mul_f64 v[57:58], v[45:46], v[9:10]
	v_mul_f64 v[59:60], v[41:42], v[7:8]
	v_mul_f64 v[41:42], v[41:42], -v[5:6]
	s_waitcnt lgkmcnt(0)
	v_mul_f64 v[61:62], v[45:46], v[33:34]
	v_fma_f64 v[39:40], v[1:2], v[35:36], v[39:40]
	v_fma_f64 v[47:48], v[3:4], v[35:36], v[47:48]
	;; [unrolled: 1-line block ×4, first 2 shown]
	ds_load_b128 v[1:4], v26
	ds_load_b128 v[27:30], v23
	v_fma_f64 v[13:14], v[13:14], v[37:38], v[43:44]
	v_fma_f64 v[15:16], v[15:16], v[37:38], v[53:54]
	;; [unrolled: 1-line block ×4, first 2 shown]
	v_mul_f64 v[43:44], v[45:46], -v[31:32]
	v_fma_f64 v[5:6], -v[5:6], v[35:36], v[59:60]
	v_fma_f64 v[7:8], -v[7:8], v[35:36], v[41:42]
	s_waitcnt lgkmcnt(1)
	v_add_f64 v[39:40], v[1:2], -v[39:40]
	v_add_f64 v[3:4], v[3:4], -v[47:48]
	s_waitcnt lgkmcnt(0)
	v_add_f64 v[27:28], v[27:28], -v[49:50]
	v_add_f64 v[29:30], v[29:30], -v[51:52]
	v_fma_f64 v[1:2], -v[31:32], v[37:38], v[61:62]
	v_add_f64 v[13:14], v[39:40], -v[13:14]
	v_add_f64 v[15:16], v[3:4], -v[15:16]
	;; [unrolled: 1-line block ×4, first 2 shown]
	v_fma_f64 v[3:4], -v[33:34], v[37:38], v[43:44]
.LBB71_18:
	s_or_b32 exec_lo, exec_lo, s4
	s_barrier
	buffer_gl0_inv
	s_and_saveexec_b32 s3, s2
	s_cbranch_execz .LBB71_20
; %bb.19:
	ds_store_b128 v26, v[13:16]
	ds_store_b128 v23, v[9:12]
	;; [unrolled: 1-line block ×4, first 2 shown]
.LBB71_20:
	s_or_b32 exec_lo, exec_lo, s3
	s_waitcnt lgkmcnt(0)
	s_barrier
	buffer_gl0_inv
	s_and_saveexec_b32 s4, s2
	s_cbranch_execz .LBB71_22
; %bb.21:
	v_max_u32_e32 v1, 8, v0
	v_min_u32_e32 v9, 55, v0
	s_delay_alu instid0(VALU_DEP_2) | instskip(NEXT) | instid1(VALU_DEP_2)
	v_lshlrev_b32_e32 v53, 4, v1
	v_lshlrev_b32_e32 v54, 4, v9
	ds_load_b128 v[1:4], v53 offset:41856
	ds_load_b128 v[5:8], v53 offset:40832
	;; [unrolled: 1-line block ×4, first 2 shown]
	s_waitcnt lgkmcnt(3)
	v_mul_f64 v[27:28], v[3:4], v[3:4]
	s_waitcnt lgkmcnt(1)
	v_mul_f64 v[29:30], v[11:12], v[11:12]
	s_delay_alu instid0(VALU_DEP_2) | instskip(NEXT) | instid1(VALU_DEP_2)
	v_fma_f64 v[35:36], v[1:2], v[1:2], v[27:28]
	v_fma_f64 v[37:38], v[9:10], v[9:10], v[29:30]
	s_delay_alu instid0(VALU_DEP_2) | instskip(NEXT) | instid1(VALU_DEP_2)
	v_div_scale_f64 v[27:28], null, v[35:36], v[35:36], 1.0
	v_div_scale_f64 v[39:40], null, v[37:38], v[37:38], 1.0
	v_div_scale_f64 v[43:44], vcc_lo, 1.0, v[35:36], 1.0
	v_div_scale_f64 v[47:48], s3, 1.0, v[37:38], 1.0
	s_delay_alu instid0(VALU_DEP_4) | instskip(NEXT) | instid1(VALU_DEP_3)
	v_rcp_f64_e32 v[29:30], v[27:28]
	v_rcp_f64_e32 v[31:32], v[39:40]
	s_waitcnt_depctr 0xfff
	v_fma_f64 v[33:34], -v[27:28], v[29:30], 1.0
	v_fma_f64 v[41:42], -v[39:40], v[31:32], 1.0
	s_delay_alu instid0(VALU_DEP_2) | instskip(NEXT) | instid1(VALU_DEP_2)
	v_fma_f64 v[29:30], v[29:30], v[33:34], v[29:30]
	v_fma_f64 v[31:32], v[31:32], v[41:42], v[31:32]
	s_delay_alu instid0(VALU_DEP_2) | instskip(NEXT) | instid1(VALU_DEP_2)
	v_fma_f64 v[33:34], -v[27:28], v[29:30], 1.0
	v_fma_f64 v[41:42], -v[39:40], v[31:32], 1.0
	s_delay_alu instid0(VALU_DEP_2) | instskip(NEXT) | instid1(VALU_DEP_2)
	v_fma_f64 v[45:46], v[29:30], v[33:34], v[29:30]
	v_fma_f64 v[41:42], v[31:32], v[41:42], v[31:32]
	s_delay_alu instid0(VALU_DEP_2) | instskip(NEXT) | instid1(VALU_DEP_2)
	v_mul_f64 v[49:50], v[43:44], v[45:46]
	v_mul_f64 v[51:52], v[47:48], v[41:42]
	s_delay_alu instid0(VALU_DEP_2)
	v_fma_f64 v[43:44], -v[27:28], v[49:50], v[43:44]
	ds_load_b128 v[27:30], v25
	ds_load_b128 v[31:34], v24
	v_fma_f64 v[39:40], -v[39:40], v[51:52], v[47:48]
	s_waitcnt lgkmcnt(1)
	v_mul_f64 v[47:48], v[3:4], -v[27:28]
	v_mul_f64 v[3:4], v[3:4], v[29:30]
	v_div_fmas_f64 v[43:44], v[43:44], v[45:46], v[49:50]
	s_mov_b32 vcc_lo, s3
	s_waitcnt lgkmcnt(0)
	v_mul_f64 v[45:46], v[11:12], -v[31:32]
	v_div_fmas_f64 v[39:40], v[39:40], v[41:42], v[51:52]
	v_mul_f64 v[11:12], v[11:12], v[33:34]
	v_fma_f64 v[29:30], v[29:30], v[1:2], v[47:48]
	v_div_fixup_f64 v[35:36], v[43:44], v[35:36], 1.0
	v_fma_f64 v[33:34], v[33:34], v[9:10], v[45:46]
	v_div_fixup_f64 v[37:38], v[39:40], v[37:38], 1.0
	v_fma_f64 v[39:40], v[27:28], v[1:2], v[3:4]
	v_fma_f64 v[43:44], v[31:32], v[9:10], v[11:12]
	v_mul_f64 v[41:42], v[35:36], v[29:30]
	ds_load_b128 v[1:4], v53 offset:42880
	ds_load_b128 v[27:30], v53 offset:44928
	v_mul_f64 v[45:46], v[37:38], v[33:34]
	v_mul_f64 v[35:36], v[35:36], v[39:40]
	ds_load_b128 v[9:12], v54 offset:45184
	ds_load_b128 v[31:34], v54 offset:43136
	v_mul_f64 v[37:38], v[37:38], v[43:44]
	s_waitcnt lgkmcnt(3)
	v_mul_f64 v[39:40], v[41:42], -v[3:4]
	v_mul_f64 v[47:48], v[41:42], v[1:2]
	s_waitcnt lgkmcnt(2)
	v_mul_f64 v[49:50], v[41:42], -v[29:30]
	v_mul_f64 v[51:52], v[41:42], v[27:28]
	v_mul_f64 v[43:44], v[45:46], -v[15:16]
	v_mul_f64 v[53:54], v[45:46], v[13:14]
	s_waitcnt lgkmcnt(1)
	v_mul_f64 v[55:56], v[45:46], -v[11:12]
	v_mul_f64 v[57:58], v[45:46], v[9:10]
	v_mul_f64 v[59:60], v[41:42], v[7:8]
	v_mul_f64 v[41:42], v[41:42], -v[5:6]
	s_waitcnt lgkmcnt(0)
	v_mul_f64 v[61:62], v[45:46], v[33:34]
	v_fma_f64 v[39:40], v[1:2], v[35:36], v[39:40]
	v_fma_f64 v[47:48], v[3:4], v[35:36], v[47:48]
	;; [unrolled: 1-line block ×4, first 2 shown]
	ds_load_b128 v[1:4], v26
	ds_load_b128 v[27:30], v23
	v_fma_f64 v[13:14], v[13:14], v[37:38], v[43:44]
	v_fma_f64 v[15:16], v[15:16], v[37:38], v[53:54]
	;; [unrolled: 1-line block ×4, first 2 shown]
	v_mul_f64 v[43:44], v[45:46], -v[31:32]
	v_fma_f64 v[5:6], -v[5:6], v[35:36], v[59:60]
	v_fma_f64 v[7:8], -v[7:8], v[35:36], v[41:42]
	s_waitcnt lgkmcnt(1)
	v_add_f64 v[39:40], v[1:2], -v[39:40]
	v_add_f64 v[3:4], v[3:4], -v[47:48]
	s_waitcnt lgkmcnt(0)
	v_add_f64 v[27:28], v[27:28], -v[49:50]
	v_add_f64 v[29:30], v[29:30], -v[51:52]
	v_fma_f64 v[1:2], -v[31:32], v[37:38], v[61:62]
	v_add_f64 v[13:14], v[39:40], -v[13:14]
	v_add_f64 v[15:16], v[3:4], -v[15:16]
	;; [unrolled: 1-line block ×4, first 2 shown]
	v_fma_f64 v[3:4], -v[33:34], v[37:38], v[43:44]
.LBB71_22:
	s_or_b32 exec_lo, exec_lo, s4
	s_barrier
	buffer_gl0_inv
	s_and_saveexec_b32 s3, s2
	s_cbranch_execz .LBB71_24
; %bb.23:
	ds_store_b128 v26, v[13:16]
	ds_store_b128 v23, v[9:12]
	;; [unrolled: 1-line block ×4, first 2 shown]
.LBB71_24:
	s_or_b32 exec_lo, exec_lo, s3
	s_waitcnt lgkmcnt(0)
	s_barrier
	buffer_gl0_inv
	s_and_saveexec_b32 s4, s2
	s_cbranch_execz .LBB71_26
; %bb.25:
	v_max_u32_e32 v1, 16, v0
	v_min_u32_e32 v9, 47, v0
	s_delay_alu instid0(VALU_DEP_2) | instskip(NEXT) | instid1(VALU_DEP_2)
	v_lshlrev_b32_e32 v53, 4, v1
	v_lshlrev_b32_e32 v54, 4, v9
	ds_load_b128 v[1:4], v53 offset:41728
	ds_load_b128 v[5:8], v53 offset:40704
	;; [unrolled: 1-line block ×4, first 2 shown]
	s_waitcnt lgkmcnt(3)
	v_mul_f64 v[27:28], v[3:4], v[3:4]
	s_waitcnt lgkmcnt(1)
	v_mul_f64 v[29:30], v[11:12], v[11:12]
	s_delay_alu instid0(VALU_DEP_2) | instskip(NEXT) | instid1(VALU_DEP_2)
	v_fma_f64 v[35:36], v[1:2], v[1:2], v[27:28]
	v_fma_f64 v[37:38], v[9:10], v[9:10], v[29:30]
	s_delay_alu instid0(VALU_DEP_2) | instskip(NEXT) | instid1(VALU_DEP_2)
	v_div_scale_f64 v[27:28], null, v[35:36], v[35:36], 1.0
	v_div_scale_f64 v[39:40], null, v[37:38], v[37:38], 1.0
	v_div_scale_f64 v[43:44], vcc_lo, 1.0, v[35:36], 1.0
	v_div_scale_f64 v[47:48], s3, 1.0, v[37:38], 1.0
	s_delay_alu instid0(VALU_DEP_4) | instskip(NEXT) | instid1(VALU_DEP_3)
	v_rcp_f64_e32 v[29:30], v[27:28]
	v_rcp_f64_e32 v[31:32], v[39:40]
	s_waitcnt_depctr 0xfff
	v_fma_f64 v[33:34], -v[27:28], v[29:30], 1.0
	v_fma_f64 v[41:42], -v[39:40], v[31:32], 1.0
	s_delay_alu instid0(VALU_DEP_2) | instskip(NEXT) | instid1(VALU_DEP_2)
	v_fma_f64 v[29:30], v[29:30], v[33:34], v[29:30]
	v_fma_f64 v[31:32], v[31:32], v[41:42], v[31:32]
	s_delay_alu instid0(VALU_DEP_2) | instskip(NEXT) | instid1(VALU_DEP_2)
	v_fma_f64 v[33:34], -v[27:28], v[29:30], 1.0
	v_fma_f64 v[41:42], -v[39:40], v[31:32], 1.0
	s_delay_alu instid0(VALU_DEP_2) | instskip(NEXT) | instid1(VALU_DEP_2)
	v_fma_f64 v[45:46], v[29:30], v[33:34], v[29:30]
	v_fma_f64 v[41:42], v[31:32], v[41:42], v[31:32]
	s_delay_alu instid0(VALU_DEP_2) | instskip(NEXT) | instid1(VALU_DEP_2)
	v_mul_f64 v[49:50], v[43:44], v[45:46]
	v_mul_f64 v[51:52], v[47:48], v[41:42]
	s_delay_alu instid0(VALU_DEP_2)
	v_fma_f64 v[43:44], -v[27:28], v[49:50], v[43:44]
	ds_load_b128 v[27:30], v25
	ds_load_b128 v[31:34], v24
	v_fma_f64 v[39:40], -v[39:40], v[51:52], v[47:48]
	s_waitcnt lgkmcnt(1)
	v_mul_f64 v[47:48], v[3:4], -v[27:28]
	v_mul_f64 v[3:4], v[3:4], v[29:30]
	v_div_fmas_f64 v[43:44], v[43:44], v[45:46], v[49:50]
	s_mov_b32 vcc_lo, s3
	s_waitcnt lgkmcnt(0)
	v_mul_f64 v[45:46], v[11:12], -v[31:32]
	v_div_fmas_f64 v[39:40], v[39:40], v[41:42], v[51:52]
	v_mul_f64 v[11:12], v[11:12], v[33:34]
	v_fma_f64 v[29:30], v[29:30], v[1:2], v[47:48]
	v_div_fixup_f64 v[35:36], v[43:44], v[35:36], 1.0
	v_fma_f64 v[33:34], v[33:34], v[9:10], v[45:46]
	v_div_fixup_f64 v[37:38], v[39:40], v[37:38], 1.0
	v_fma_f64 v[39:40], v[27:28], v[1:2], v[3:4]
	v_fma_f64 v[43:44], v[31:32], v[9:10], v[11:12]
	v_mul_f64 v[41:42], v[35:36], v[29:30]
	ds_load_b128 v[1:4], v53 offset:42752
	ds_load_b128 v[27:30], v53 offset:44800
	v_mul_f64 v[45:46], v[37:38], v[33:34]
	v_mul_f64 v[35:36], v[35:36], v[39:40]
	ds_load_b128 v[9:12], v54 offset:45312
	ds_load_b128 v[31:34], v54 offset:43264
	v_mul_f64 v[37:38], v[37:38], v[43:44]
	s_waitcnt lgkmcnt(3)
	v_mul_f64 v[39:40], v[41:42], -v[3:4]
	v_mul_f64 v[47:48], v[41:42], v[1:2]
	s_waitcnt lgkmcnt(2)
	v_mul_f64 v[49:50], v[41:42], -v[29:30]
	v_mul_f64 v[51:52], v[41:42], v[27:28]
	v_mul_f64 v[43:44], v[45:46], -v[15:16]
	v_mul_f64 v[53:54], v[45:46], v[13:14]
	s_waitcnt lgkmcnt(1)
	v_mul_f64 v[55:56], v[45:46], -v[11:12]
	v_mul_f64 v[57:58], v[45:46], v[9:10]
	v_mul_f64 v[59:60], v[41:42], v[7:8]
	v_mul_f64 v[41:42], v[41:42], -v[5:6]
	s_waitcnt lgkmcnt(0)
	v_mul_f64 v[61:62], v[45:46], v[33:34]
	v_fma_f64 v[39:40], v[1:2], v[35:36], v[39:40]
	v_fma_f64 v[47:48], v[3:4], v[35:36], v[47:48]
	;; [unrolled: 1-line block ×4, first 2 shown]
	ds_load_b128 v[1:4], v26
	ds_load_b128 v[27:30], v23
	v_fma_f64 v[13:14], v[13:14], v[37:38], v[43:44]
	v_fma_f64 v[15:16], v[15:16], v[37:38], v[53:54]
	;; [unrolled: 1-line block ×4, first 2 shown]
	v_mul_f64 v[43:44], v[45:46], -v[31:32]
	v_fma_f64 v[5:6], -v[5:6], v[35:36], v[59:60]
	v_fma_f64 v[7:8], -v[7:8], v[35:36], v[41:42]
	s_waitcnt lgkmcnt(1)
	v_add_f64 v[39:40], v[1:2], -v[39:40]
	v_add_f64 v[3:4], v[3:4], -v[47:48]
	s_waitcnt lgkmcnt(0)
	v_add_f64 v[27:28], v[27:28], -v[49:50]
	v_add_f64 v[29:30], v[29:30], -v[51:52]
	v_fma_f64 v[1:2], -v[31:32], v[37:38], v[61:62]
	v_add_f64 v[13:14], v[39:40], -v[13:14]
	v_add_f64 v[15:16], v[3:4], -v[15:16]
	;; [unrolled: 1-line block ×4, first 2 shown]
	v_fma_f64 v[3:4], -v[33:34], v[37:38], v[43:44]
.LBB71_26:
	s_or_b32 exec_lo, exec_lo, s4
	s_barrier
	buffer_gl0_inv
	s_and_saveexec_b32 s3, s2
	s_cbranch_execz .LBB71_28
; %bb.27:
	ds_store_b128 v26, v[13:16]
	ds_store_b128 v23, v[9:12]
	;; [unrolled: 1-line block ×4, first 2 shown]
.LBB71_28:
	s_or_b32 exec_lo, exec_lo, s3
	s_delay_alu instid0(SALU_CYCLE_1)
	s_mov_b32 s3, exec_lo
	s_waitcnt lgkmcnt(0)
	s_barrier
	buffer_gl0_inv
	v_cmpx_gt_u32_e32 32, v0
	s_cbranch_execz .LBB71_30
; %bb.29:
	ds_load_b128 v[1:4], v26
	ds_load_b128 v[5:8], v26 offset:512
	ds_load_b128 v[9:12], v25 offset:512
	ds_load_b128 v[13:16], v24
	s_waitcnt lgkmcnt(2)
	v_mul_f64 v[24:25], v[3:4], v[5:6]
	v_mul_f64 v[28:29], v[3:4], -v[7:8]
	s_waitcnt lgkmcnt(0)
	v_mul_f64 v[26:27], v[11:12], v[13:14]
	v_mul_f64 v[30:31], v[11:12], -v[15:16]
	s_delay_alu instid0(VALU_DEP_4) | instskip(NEXT) | instid1(VALU_DEP_4)
	v_fma_f64 v[24:25], v[7:8], v[1:2], v[24:25]
	v_fma_f64 v[28:29], v[5:6], v[1:2], v[28:29]
	s_delay_alu instid0(VALU_DEP_4) | instskip(NEXT) | instid1(VALU_DEP_4)
	v_fma_f64 v[26:27], v[15:16], v[9:10], v[26:27]
	v_fma_f64 v[30:31], v[13:14], v[9:10], v[30:31]
	s_delay_alu instid0(VALU_DEP_2) | instskip(NEXT) | instid1(VALU_DEP_2)
	v_add_f64 v[32:33], v[24:25], -v[26:27]
	v_add_f64 v[34:35], v[28:29], -v[30:31]
	s_delay_alu instid0(VALU_DEP_2) | instskip(NEXT) | instid1(VALU_DEP_1)
	v_mul_f64 v[24:25], v[32:33], v[32:33]
	v_fma_f64 v[36:37], v[34:35], v[34:35], v[24:25]
	s_delay_alu instid0(VALU_DEP_1) | instskip(SKIP_1) | instid1(VALU_DEP_2)
	v_div_scale_f64 v[24:25], null, v[36:37], v[36:37], 1.0
	v_div_scale_f64 v[30:31], vcc_lo, 1.0, v[36:37], 1.0
	v_rcp_f64_e32 v[26:27], v[24:25]
	s_waitcnt_depctr 0xfff
	v_fma_f64 v[28:29], -v[24:25], v[26:27], 1.0
	s_delay_alu instid0(VALU_DEP_1) | instskip(NEXT) | instid1(VALU_DEP_1)
	v_fma_f64 v[26:27], v[26:27], v[28:29], v[26:27]
	v_fma_f64 v[28:29], -v[24:25], v[26:27], 1.0
	s_delay_alu instid0(VALU_DEP_1) | instskip(NEXT) | instid1(VALU_DEP_1)
	v_fma_f64 v[38:39], v[26:27], v[28:29], v[26:27]
	v_mul_f64 v[40:41], v[30:31], v[38:39]
	s_delay_alu instid0(VALU_DEP_1)
	v_fma_f64 v[42:43], -v[24:25], v[40:41], v[30:31]
	ds_load_b128 v[24:27], v23
	ds_load_b128 v[28:31], v23 offset:512
	s_waitcnt lgkmcnt(1)
	v_mul_f64 v[44:45], v[26:27], -v[7:8]
	v_mul_f64 v[46:47], v[5:6], v[26:27]
	s_waitcnt lgkmcnt(0)
	v_mul_f64 v[48:49], v[30:31], -v[15:16]
	v_mul_f64 v[50:51], v[13:14], v[30:31]
	v_mul_f64 v[52:53], v[3:4], -v[30:31]
	v_mul_f64 v[3:4], v[3:4], v[28:29]
	v_div_fmas_f64 v[38:39], v[42:43], v[38:39], v[40:41]
	v_mul_f64 v[40:41], v[11:12], v[24:25]
	v_mul_f64 v[11:12], v[11:12], -v[26:27]
	v_fma_f64 v[42:43], v[34:35], 0, -v[32:33]
	v_fma_f64 v[5:6], v[5:6], v[24:25], v[44:45]
	v_fma_f64 v[7:8], v[7:8], v[24:25], v[46:47]
	;; [unrolled: 1-line block ×6, first 2 shown]
	v_div_fixup_f64 v[36:37], v[38:39], v[36:37], 1.0
	v_fma_f64 v[3:4], v[26:27], v[9:10], v[40:41]
	v_fma_f64 v[9:10], v[24:25], v[9:10], v[11:12]
	;; [unrolled: 1-line block ×3, first 2 shown]
	v_add_f64 v[5:6], v[5:6], -v[13:14]
	v_add_f64 v[7:8], v[7:8], -v[15:16]
	v_mul_f64 v[15:16], v[42:43], v[36:37]
	v_add_f64 v[13:14], v[1:2], -v[3:4]
	v_add_f64 v[9:10], v[28:29], -v[9:10]
	v_mul_f64 v[11:12], v[11:12], v[36:37]
	s_delay_alu instid0(VALU_DEP_4) | instskip(SKIP_3) | instid1(VALU_DEP_4)
	v_mul_f64 v[1:2], v[15:16], -v[7:8]
	v_mul_f64 v[3:4], v[15:16], v[5:6]
	v_mul_f64 v[23:24], v[15:16], -v[13:14]
	v_mul_f64 v[15:16], v[15:16], v[9:10]
	v_fma_f64 v[1:2], v[5:6], v[11:12], v[1:2]
	s_delay_alu instid0(VALU_DEP_4) | instskip(NEXT) | instid1(VALU_DEP_4)
	v_fma_f64 v[3:4], v[7:8], v[11:12], v[3:4]
	v_fma_f64 v[5:6], v[9:10], v[11:12], v[23:24]
	s_delay_alu instid0(VALU_DEP_4)
	v_fma_f64 v[7:8], v[13:14], v[11:12], v[15:16]
	ds_store_b128 v21, v[1:4] offset:44032
	ds_store_b128 v21, v[5:8] offset:44544
.LBB71_30:
	s_or_b32 exec_lo, exec_lo, s3
	s_waitcnt lgkmcnt(0)
	s_barrier
	buffer_gl0_inv
	s_and_saveexec_b32 s3, s2
	s_cbranch_execz .LBB71_32
; %bb.31:
	ds_load_b128 v[1:4], v21 offset:44032
	s_waitcnt lgkmcnt(0)
	ds_store_b128 v22, v[1:4] offset:24560
.LBB71_32:
	s_or_b32 exec_lo, exec_lo, s3
	s_waitcnt lgkmcnt(0)
	s_barrier
	buffer_gl0_inv
	s_and_saveexec_b32 s3, s2
	s_cbranch_execz .LBB71_38
; %bb.33:
	v_lshlrev_b32_e32 v1, 3, v0
	s_mov_b32 s2, exec_lo
                                        ; implicit-def: $vgpr3_vgpr4
	s_delay_alu instid0(VALU_DEP_1)
	v_lshlrev_b32_e32 v5, 4, v1
	v_cmpx_ne_u32_e32 0, v0
	s_xor_b32 s2, exec_lo, s2
	s_cbranch_execz .LBB71_35
; %bb.34:
	ds_load_b128 v[1:4], v5 offset:8240
	s_waitcnt lgkmcnt(0)
	v_mul_f64 v[6:7], v[3:4], v[3:4]
	s_delay_alu instid0(VALU_DEP_1) | instskip(NEXT) | instid1(VALU_DEP_1)
	v_fma_f64 v[14:15], v[1:2], v[1:2], v[6:7]
	v_div_scale_f64 v[34:35], null, v[14:15], v[14:15], 1.0
	s_delay_alu instid0(VALU_DEP_1) | instskip(SKIP_2) | instid1(VALU_DEP_1)
	v_rcp_f64_e32 v[6:7], v[34:35]
	s_waitcnt_depctr 0xfff
	v_fma_f64 v[8:9], -v[34:35], v[6:7], 1.0
	v_fma_f64 v[36:37], v[6:7], v[8:9], v[6:7]
	ds_load_b128 v[6:9], v5 offset:24560
	ds_load_b128 v[10:13], v5 offset:48
	;; [unrolled: 1-line block ×5, first 2 shown]
	s_waitcnt lgkmcnt(3)
	v_mul_f64 v[38:39], v[8:9], v[10:11]
	v_mul_f64 v[8:9], v[8:9], -v[12:13]
	s_waitcnt lgkmcnt(0)
	v_mul_f64 v[42:43], v[28:29], -v[32:33]
	v_mul_f64 v[28:29], v[28:29], v[30:31]
	v_fma_f64 v[40:41], -v[34:35], v[36:37], 1.0
	v_fma_f64 v[12:13], v[12:13], v[6:7], v[38:39]
	v_div_scale_f64 v[38:39], vcc_lo, 1.0, v[14:15], 1.0
	v_fma_f64 v[6:7], v[10:11], v[6:7], v[8:9]
	v_fma_f64 v[8:9], v[32:33], v[26:27], v[28:29]
	v_fma_f64 v[36:37], v[36:37], v[40:41], v[36:37]
	v_add_f64 v[10:11], v[24:25], -v[12:13]
	v_fma_f64 v[12:13], v[30:31], v[26:27], v[42:43]
	v_add_f64 v[6:7], v[22:23], -v[6:7]
	s_delay_alu instid0(VALU_DEP_4) | instskip(NEXT) | instid1(VALU_DEP_4)
	v_mul_f64 v[24:25], v[38:39], v[36:37]
	v_add_f64 v[8:9], v[10:11], -v[8:9]
	s_delay_alu instid0(VALU_DEP_3) | instskip(NEXT) | instid1(VALU_DEP_3)
	v_add_f64 v[6:7], v[6:7], -v[12:13]
	v_fma_f64 v[10:11], -v[34:35], v[24:25], v[38:39]
	s_delay_alu instid0(VALU_DEP_3) | instskip(NEXT) | instid1(VALU_DEP_3)
	v_mul_f64 v[12:13], v[8:9], v[3:4]
	v_mul_f64 v[3:4], v[3:4], -v[6:7]
	s_delay_alu instid0(VALU_DEP_3) | instskip(NEXT) | instid1(VALU_DEP_3)
	v_div_fmas_f64 v[10:11], v[10:11], v[36:37], v[24:25]
	v_fma_f64 v[6:7], v[6:7], v[1:2], v[12:13]
	s_delay_alu instid0(VALU_DEP_3) | instskip(NEXT) | instid1(VALU_DEP_3)
	v_fma_f64 v[3:4], v[8:9], v[1:2], v[3:4]
	v_div_fixup_f64 v[10:11], v[10:11], v[14:15], 1.0
	s_delay_alu instid0(VALU_DEP_1) | instskip(NEXT) | instid1(VALU_DEP_3)
	v_mul_f64 v[1:2], v[6:7], v[10:11]
	v_mul_f64 v[3:4], v[10:11], v[3:4]
.LBB71_35:
	s_and_not1_saveexec_b32 s2, s2
	s_cbranch_execz .LBB71_37
; %bb.36:
	ds_load_b128 v[1:4], v5 offset:8240
	s_waitcnt lgkmcnt(0)
	v_mul_f64 v[6:7], v[3:4], v[3:4]
	s_delay_alu instid0(VALU_DEP_1) | instskip(NEXT) | instid1(VALU_DEP_1)
	v_fma_f64 v[14:15], v[1:2], v[1:2], v[6:7]
	v_div_scale_f64 v[22:23], null, v[14:15], v[14:15], 1.0
	v_div_scale_f64 v[30:31], vcc_lo, 1.0, v[14:15], 1.0
	s_delay_alu instid0(VALU_DEP_2) | instskip(SKIP_2) | instid1(VALU_DEP_1)
	v_rcp_f64_e32 v[6:7], v[22:23]
	s_waitcnt_depctr 0xfff
	v_fma_f64 v[8:9], -v[22:23], v[6:7], 1.0
	v_fma_f64 v[24:25], v[6:7], v[8:9], v[6:7]
	ds_load_b128 v[6:9], v5 offset:24688
	ds_load_b128 v[10:13], v5 offset:16432
	s_waitcnt lgkmcnt(0)
	v_mul_f64 v[28:29], v[8:9], v[10:11]
	v_mul_f64 v[8:9], v[8:9], -v[12:13]
	v_fma_f64 v[26:27], -v[22:23], v[24:25], 1.0
	s_delay_alu instid0(VALU_DEP_3) | instskip(NEXT) | instid1(VALU_DEP_3)
	v_fma_f64 v[12:13], v[12:13], v[6:7], v[28:29]
	v_fma_f64 v[10:11], v[10:11], v[6:7], v[8:9]
	ds_load_b128 v[6:9], v5 offset:32816
	v_fma_f64 v[24:25], v[24:25], v[26:27], v[24:25]
	s_waitcnt lgkmcnt(0)
	v_add_f64 v[8:9], v[8:9], -v[12:13]
	v_add_f64 v[6:7], v[6:7], -v[10:11]
	s_delay_alu instid0(VALU_DEP_3) | instskip(NEXT) | instid1(VALU_DEP_3)
	v_mul_f64 v[26:27], v[30:31], v[24:25]
	v_mul_f64 v[10:11], v[8:9], v[3:4]
	s_delay_alu instid0(VALU_DEP_3) | instskip(NEXT) | instid1(VALU_DEP_3)
	v_mul_f64 v[3:4], v[3:4], -v[6:7]
	v_fma_f64 v[12:13], -v[22:23], v[26:27], v[30:31]
	s_delay_alu instid0(VALU_DEP_3) | instskip(NEXT) | instid1(VALU_DEP_3)
	v_fma_f64 v[6:7], v[6:7], v[1:2], v[10:11]
	v_fma_f64 v[3:4], v[8:9], v[1:2], v[3:4]
	s_delay_alu instid0(VALU_DEP_3) | instskip(NEXT) | instid1(VALU_DEP_1)
	v_div_fmas_f64 v[12:13], v[12:13], v[24:25], v[26:27]
	v_div_fixup_f64 v[10:11], v[12:13], v[14:15], 1.0
	s_delay_alu instid0(VALU_DEP_1) | instskip(NEXT) | instid1(VALU_DEP_4)
	v_mul_f64 v[1:2], v[6:7], v[10:11]
	v_mul_f64 v[3:4], v[3:4], v[10:11]
.LBB71_37:
	s_or_b32 exec_lo, exec_lo, s2
	ds_store_b128 v5, v[1:4] offset:24624
.LBB71_38:
	s_or_b32 exec_lo, exec_lo, s3
	s_waitcnt lgkmcnt(0)
	s_barrier
	buffer_gl0_inv
	s_and_saveexec_b32 s2, s1
	s_cbranch_execz .LBB71_44
; %bb.39:
	v_lshlrev_b32_e32 v1, 2, v0
	s_mov_b32 s1, exec_lo
                                        ; implicit-def: $vgpr3_vgpr4
	s_delay_alu instid0(VALU_DEP_1)
	v_lshlrev_b32_e32 v5, 4, v1
	v_cmpx_ne_u32_e32 0, v0
	s_xor_b32 s1, exec_lo, s1
	s_cbranch_execz .LBB71_41
; %bb.40:
	ds_load_b128 v[1:4], v5 offset:8208
	s_waitcnt lgkmcnt(0)
	v_mul_f64 v[6:7], v[3:4], v[3:4]
	s_delay_alu instid0(VALU_DEP_1) | instskip(NEXT) | instid1(VALU_DEP_1)
	v_fma_f64 v[14:15], v[1:2], v[1:2], v[6:7]
	v_div_scale_f64 v[34:35], null, v[14:15], v[14:15], 1.0
	s_delay_alu instid0(VALU_DEP_1) | instskip(SKIP_2) | instid1(VALU_DEP_1)
	v_rcp_f64_e32 v[6:7], v[34:35]
	s_waitcnt_depctr 0xfff
	v_fma_f64 v[8:9], -v[34:35], v[6:7], 1.0
	v_fma_f64 v[36:37], v[6:7], v[8:9], v[6:7]
	ds_load_b128 v[6:9], v5 offset:24560
	ds_load_b128 v[10:13], v5 offset:16
	;; [unrolled: 1-line block ×5, first 2 shown]
	s_waitcnt lgkmcnt(3)
	v_mul_f64 v[38:39], v[8:9], v[10:11]
	v_mul_f64 v[8:9], v[8:9], -v[12:13]
	s_waitcnt lgkmcnt(0)
	v_mul_f64 v[42:43], v[28:29], -v[32:33]
	v_mul_f64 v[28:29], v[28:29], v[30:31]
	v_fma_f64 v[40:41], -v[34:35], v[36:37], 1.0
	v_fma_f64 v[12:13], v[12:13], v[6:7], v[38:39]
	v_div_scale_f64 v[38:39], vcc_lo, 1.0, v[14:15], 1.0
	v_fma_f64 v[6:7], v[10:11], v[6:7], v[8:9]
	v_fma_f64 v[8:9], v[32:33], v[26:27], v[28:29]
	;; [unrolled: 1-line block ×3, first 2 shown]
	v_add_f64 v[10:11], v[24:25], -v[12:13]
	v_fma_f64 v[12:13], v[30:31], v[26:27], v[42:43]
	v_add_f64 v[6:7], v[22:23], -v[6:7]
	s_delay_alu instid0(VALU_DEP_4) | instskip(NEXT) | instid1(VALU_DEP_4)
	v_mul_f64 v[24:25], v[38:39], v[36:37]
	v_add_f64 v[8:9], v[10:11], -v[8:9]
	s_delay_alu instid0(VALU_DEP_3) | instskip(NEXT) | instid1(VALU_DEP_3)
	v_add_f64 v[6:7], v[6:7], -v[12:13]
	v_fma_f64 v[10:11], -v[34:35], v[24:25], v[38:39]
	s_delay_alu instid0(VALU_DEP_3) | instskip(NEXT) | instid1(VALU_DEP_3)
	v_mul_f64 v[12:13], v[8:9], v[3:4]
	v_mul_f64 v[3:4], v[3:4], -v[6:7]
	s_delay_alu instid0(VALU_DEP_3) | instskip(NEXT) | instid1(VALU_DEP_3)
	v_div_fmas_f64 v[10:11], v[10:11], v[36:37], v[24:25]
	v_fma_f64 v[6:7], v[6:7], v[1:2], v[12:13]
	s_delay_alu instid0(VALU_DEP_3) | instskip(NEXT) | instid1(VALU_DEP_3)
	v_fma_f64 v[3:4], v[8:9], v[1:2], v[3:4]
	v_div_fixup_f64 v[10:11], v[10:11], v[14:15], 1.0
	s_delay_alu instid0(VALU_DEP_1) | instskip(NEXT) | instid1(VALU_DEP_3)
	v_mul_f64 v[1:2], v[6:7], v[10:11]
	v_mul_f64 v[3:4], v[10:11], v[3:4]
.LBB71_41:
	s_and_not1_saveexec_b32 s1, s1
	s_cbranch_execz .LBB71_43
; %bb.42:
	ds_load_b128 v[1:4], v5 offset:8208
	s_waitcnt lgkmcnt(0)
	v_mul_f64 v[6:7], v[3:4], v[3:4]
	s_delay_alu instid0(VALU_DEP_1) | instskip(NEXT) | instid1(VALU_DEP_1)
	v_fma_f64 v[14:15], v[1:2], v[1:2], v[6:7]
	v_div_scale_f64 v[22:23], null, v[14:15], v[14:15], 1.0
	v_div_scale_f64 v[30:31], vcc_lo, 1.0, v[14:15], 1.0
	s_delay_alu instid0(VALU_DEP_2) | instskip(SKIP_2) | instid1(VALU_DEP_1)
	v_rcp_f64_e32 v[6:7], v[22:23]
	s_waitcnt_depctr 0xfff
	v_fma_f64 v[8:9], -v[22:23], v[6:7], 1.0
	v_fma_f64 v[24:25], v[6:7], v[8:9], v[6:7]
	ds_load_b128 v[6:9], v5 offset:24624
	ds_load_b128 v[10:13], v5 offset:16400
	s_waitcnt lgkmcnt(0)
	v_mul_f64 v[28:29], v[8:9], v[10:11]
	v_mul_f64 v[8:9], v[8:9], -v[12:13]
	v_fma_f64 v[26:27], -v[22:23], v[24:25], 1.0
	s_delay_alu instid0(VALU_DEP_3) | instskip(NEXT) | instid1(VALU_DEP_3)
	v_fma_f64 v[12:13], v[12:13], v[6:7], v[28:29]
	v_fma_f64 v[10:11], v[10:11], v[6:7], v[8:9]
	ds_load_b128 v[6:9], v5 offset:32784
	v_fma_f64 v[24:25], v[24:25], v[26:27], v[24:25]
	s_waitcnt lgkmcnt(0)
	v_add_f64 v[8:9], v[8:9], -v[12:13]
	v_add_f64 v[6:7], v[6:7], -v[10:11]
	s_delay_alu instid0(VALU_DEP_3) | instskip(NEXT) | instid1(VALU_DEP_3)
	v_mul_f64 v[26:27], v[30:31], v[24:25]
	v_mul_f64 v[10:11], v[8:9], v[3:4]
	s_delay_alu instid0(VALU_DEP_3) | instskip(NEXT) | instid1(VALU_DEP_3)
	v_mul_f64 v[3:4], v[3:4], -v[6:7]
	v_fma_f64 v[12:13], -v[22:23], v[26:27], v[30:31]
	s_delay_alu instid0(VALU_DEP_3) | instskip(NEXT) | instid1(VALU_DEP_3)
	v_fma_f64 v[6:7], v[6:7], v[1:2], v[10:11]
	v_fma_f64 v[3:4], v[8:9], v[1:2], v[3:4]
	s_delay_alu instid0(VALU_DEP_3) | instskip(NEXT) | instid1(VALU_DEP_1)
	v_div_fmas_f64 v[12:13], v[12:13], v[24:25], v[26:27]
	v_div_fixup_f64 v[10:11], v[12:13], v[14:15], 1.0
	s_delay_alu instid0(VALU_DEP_1) | instskip(NEXT) | instid1(VALU_DEP_4)
	v_mul_f64 v[1:2], v[6:7], v[10:11]
	v_mul_f64 v[3:4], v[3:4], v[10:11]
.LBB71_43:
	s_or_b32 exec_lo, exec_lo, s1
	ds_store_b128 v5, v[1:4] offset:24592
.LBB71_44:
	s_or_b32 exec_lo, exec_lo, s2
	s_waitcnt lgkmcnt(0)
	s_barrier
	buffer_gl0_inv
	s_and_saveexec_b32 s1, s0
	s_cbranch_execz .LBB71_50
; %bb.45:
	v_lshlrev_b32_e32 v1, 1, v0
	s_mov_b32 s0, exec_lo
                                        ; implicit-def: $vgpr2_vgpr3
	s_delay_alu instid0(VALU_DEP_1)
	v_lshlrev_b32_e32 v4, 4, v1
	v_cmpx_ne_u32_e32 0, v0
	s_xor_b32 s0, exec_lo, s0
	s_cbranch_execz .LBB71_47
; %bb.46:
	ds_load_b128 v[0:3], v4 offset:8192
	s_waitcnt lgkmcnt(0)
	v_mul_f64 v[5:6], v[2:3], v[2:3]
	s_delay_alu instid0(VALU_DEP_1) | instskip(NEXT) | instid1(VALU_DEP_1)
	v_fma_f64 v[30:31], v[0:1], v[0:1], v[5:6]
	v_div_scale_f64 v[32:33], null, v[30:31], v[30:31], 1.0
	s_delay_alu instid0(VALU_DEP_1) | instskip(SKIP_2) | instid1(VALU_DEP_1)
	v_rcp_f64_e32 v[5:6], v[32:33]
	s_waitcnt_depctr 0xfff
	v_fma_f64 v[7:8], -v[32:33], v[5:6], 1.0
	v_fma_f64 v[34:35], v[5:6], v[7:8], v[5:6]
	ds_load_b128 v[5:8], v4 offset:24560
	ds_load_b128 v[9:12], v4
	ds_load_b128 v[13:16], v4 offset:32768
	ds_load_b128 v[22:25], v4 offset:24592
	;; [unrolled: 1-line block ×3, first 2 shown]
	s_waitcnt lgkmcnt(3)
	v_mul_f64 v[36:37], v[7:8], v[9:10]
	v_mul_f64 v[7:8], v[7:8], -v[11:12]
	s_waitcnt lgkmcnt(0)
	v_mul_f64 v[40:41], v[24:25], -v[28:29]
	v_mul_f64 v[24:25], v[24:25], v[26:27]
	v_fma_f64 v[38:39], -v[32:33], v[34:35], 1.0
	v_fma_f64 v[11:12], v[11:12], v[5:6], v[36:37]
	v_div_scale_f64 v[36:37], vcc_lo, 1.0, v[30:31], 1.0
	v_fma_f64 v[5:6], v[9:10], v[5:6], v[7:8]
	v_fma_f64 v[7:8], v[28:29], v[22:23], v[24:25]
	;; [unrolled: 1-line block ×3, first 2 shown]
	v_add_f64 v[9:10], v[15:16], -v[11:12]
	v_fma_f64 v[11:12], v[26:27], v[22:23], v[40:41]
	v_add_f64 v[5:6], v[13:14], -v[5:6]
	s_delay_alu instid0(VALU_DEP_4) | instskip(NEXT) | instid1(VALU_DEP_4)
	v_mul_f64 v[15:16], v[36:37], v[34:35]
	v_add_f64 v[7:8], v[9:10], -v[7:8]
	s_delay_alu instid0(VALU_DEP_3) | instskip(NEXT) | instid1(VALU_DEP_3)
	v_add_f64 v[5:6], v[5:6], -v[11:12]
	v_fma_f64 v[9:10], -v[32:33], v[15:16], v[36:37]
	s_delay_alu instid0(VALU_DEP_3) | instskip(NEXT) | instid1(VALU_DEP_3)
	v_mul_f64 v[11:12], v[7:8], v[2:3]
	v_mul_f64 v[2:3], v[2:3], -v[5:6]
	s_delay_alu instid0(VALU_DEP_3) | instskip(NEXT) | instid1(VALU_DEP_3)
	v_div_fmas_f64 v[9:10], v[9:10], v[34:35], v[15:16]
	v_fma_f64 v[5:6], v[5:6], v[0:1], v[11:12]
	s_delay_alu instid0(VALU_DEP_3) | instskip(NEXT) | instid1(VALU_DEP_3)
	v_fma_f64 v[2:3], v[7:8], v[0:1], v[2:3]
	v_div_fixup_f64 v[9:10], v[9:10], v[30:31], 1.0
	s_delay_alu instid0(VALU_DEP_1) | instskip(NEXT) | instid1(VALU_DEP_3)
	v_mul_f64 v[0:1], v[5:6], v[9:10]
	v_mul_f64 v[2:3], v[9:10], v[2:3]
.LBB71_47:
	s_and_not1_saveexec_b32 s0, s0
	s_cbranch_execz .LBB71_49
; %bb.48:
	ds_load_b128 v[0:3], v4 offset:8192
	s_waitcnt lgkmcnt(0)
	v_mul_f64 v[5:6], v[2:3], v[2:3]
	s_delay_alu instid0(VALU_DEP_1) | instskip(NEXT) | instid1(VALU_DEP_1)
	v_fma_f64 v[13:14], v[0:1], v[0:1], v[5:6]
	v_div_scale_f64 v[15:16], null, v[13:14], v[13:14], 1.0
	v_div_scale_f64 v[28:29], vcc_lo, 1.0, v[13:14], 1.0
	s_delay_alu instid0(VALU_DEP_2) | instskip(SKIP_2) | instid1(VALU_DEP_1)
	v_rcp_f64_e32 v[5:6], v[15:16]
	s_waitcnt_depctr 0xfff
	v_fma_f64 v[7:8], -v[15:16], v[5:6], 1.0
	v_fma_f64 v[22:23], v[5:6], v[7:8], v[5:6]
	ds_load_b128 v[5:8], v4 offset:24592
	ds_load_b128 v[9:12], v4 offset:16384
	s_waitcnt lgkmcnt(0)
	v_mul_f64 v[26:27], v[7:8], v[9:10]
	v_mul_f64 v[7:8], v[7:8], -v[11:12]
	v_fma_f64 v[24:25], -v[15:16], v[22:23], 1.0
	s_delay_alu instid0(VALU_DEP_3) | instskip(NEXT) | instid1(VALU_DEP_3)
	v_fma_f64 v[11:12], v[11:12], v[5:6], v[26:27]
	v_fma_f64 v[9:10], v[9:10], v[5:6], v[7:8]
	ds_load_b128 v[5:8], v4 offset:32768
	v_fma_f64 v[22:23], v[22:23], v[24:25], v[22:23]
	s_waitcnt lgkmcnt(0)
	v_add_f64 v[7:8], v[7:8], -v[11:12]
	v_add_f64 v[5:6], v[5:6], -v[9:10]
	s_delay_alu instid0(VALU_DEP_3) | instskip(NEXT) | instid1(VALU_DEP_3)
	v_mul_f64 v[24:25], v[28:29], v[22:23]
	v_mul_f64 v[9:10], v[7:8], v[2:3]
	s_delay_alu instid0(VALU_DEP_3) | instskip(NEXT) | instid1(VALU_DEP_3)
	v_mul_f64 v[2:3], v[2:3], -v[5:6]
	v_fma_f64 v[11:12], -v[15:16], v[24:25], v[28:29]
	s_delay_alu instid0(VALU_DEP_3) | instskip(NEXT) | instid1(VALU_DEP_3)
	v_fma_f64 v[5:6], v[5:6], v[0:1], v[9:10]
	v_fma_f64 v[2:3], v[7:8], v[0:1], v[2:3]
	s_delay_alu instid0(VALU_DEP_3) | instskip(NEXT) | instid1(VALU_DEP_1)
	v_div_fmas_f64 v[11:12], v[11:12], v[22:23], v[24:25]
	v_div_fixup_f64 v[9:10], v[11:12], v[13:14], 1.0
	s_delay_alu instid0(VALU_DEP_1) | instskip(NEXT) | instid1(VALU_DEP_4)
	v_mul_f64 v[0:1], v[5:6], v[9:10]
	v_mul_f64 v[2:3], v[2:3], v[9:10]
.LBB71_49:
	s_or_b32 exec_lo, exec_lo, s0
	ds_store_b128 v4, v[0:3] offset:24576
.LBB71_50:
	s_or_b32 exec_lo, exec_lo, s1
	v_or_b32_e32 v0, 0x6000, v21
	v_or_b32_e32 v4, 0x7000, v21
	s_waitcnt lgkmcnt(0)
	s_barrier
	buffer_gl0_inv
	ds_load_2addr_b64 v[0:3], v0 offset1:1
	ds_load_2addr_b64 v[4:7], v4 offset1:1
	s_waitcnt lgkmcnt(1)
	global_store_b128 v[17:18], v[0:3], off
	s_waitcnt lgkmcnt(0)
	global_store_b128 v[19:20], v[4:7], off
	s_nop 0
	s_sendmsg sendmsg(MSG_DEALLOC_VGPRS)
	s_endpgm
	.section	.rodata,"a",@progbits
	.p2align	6, 0x0
	.amdhsa_kernel _ZN9rocsparseL51gtsv_nopivot_strided_batch_crpcr_pow2_shared_kernelILj256ELj64E21rocsparse_complex_numIdEEEviiiPKT1_S5_S5_PS3_
		.amdhsa_group_segment_fixed_size 46080
		.amdhsa_private_segment_fixed_size 0
		.amdhsa_kernarg_size 48
		.amdhsa_user_sgpr_count 15
		.amdhsa_user_sgpr_dispatch_ptr 0
		.amdhsa_user_sgpr_queue_ptr 0
		.amdhsa_user_sgpr_kernarg_segment_ptr 1
		.amdhsa_user_sgpr_dispatch_id 0
		.amdhsa_user_sgpr_private_segment_size 0
		.amdhsa_wavefront_size32 1
		.amdhsa_uses_dynamic_stack 0
		.amdhsa_enable_private_segment 0
		.amdhsa_system_sgpr_workgroup_id_x 1
		.amdhsa_system_sgpr_workgroup_id_y 0
		.amdhsa_system_sgpr_workgroup_id_z 0
		.amdhsa_system_sgpr_workgroup_info 0
		.amdhsa_system_vgpr_workitem_id 0
		.amdhsa_next_free_vgpr 66
		.amdhsa_next_free_sgpr 16
		.amdhsa_reserve_vcc 1
		.amdhsa_float_round_mode_32 0
		.amdhsa_float_round_mode_16_64 0
		.amdhsa_float_denorm_mode_32 3
		.amdhsa_float_denorm_mode_16_64 3
		.amdhsa_dx10_clamp 1
		.amdhsa_ieee_mode 1
		.amdhsa_fp16_overflow 0
		.amdhsa_workgroup_processor_mode 1
		.amdhsa_memory_ordered 1
		.amdhsa_forward_progress 0
		.amdhsa_shared_vgpr_count 0
		.amdhsa_exception_fp_ieee_invalid_op 0
		.amdhsa_exception_fp_denorm_src 0
		.amdhsa_exception_fp_ieee_div_zero 0
		.amdhsa_exception_fp_ieee_overflow 0
		.amdhsa_exception_fp_ieee_underflow 0
		.amdhsa_exception_fp_ieee_inexact 0
		.amdhsa_exception_int_div_zero 0
	.end_amdhsa_kernel
	.section	.text._ZN9rocsparseL51gtsv_nopivot_strided_batch_crpcr_pow2_shared_kernelILj256ELj64E21rocsparse_complex_numIdEEEviiiPKT1_S5_S5_PS3_,"axG",@progbits,_ZN9rocsparseL51gtsv_nopivot_strided_batch_crpcr_pow2_shared_kernelILj256ELj64E21rocsparse_complex_numIdEEEviiiPKT1_S5_S5_PS3_,comdat
.Lfunc_end71:
	.size	_ZN9rocsparseL51gtsv_nopivot_strided_batch_crpcr_pow2_shared_kernelILj256ELj64E21rocsparse_complex_numIdEEEviiiPKT1_S5_S5_PS3_, .Lfunc_end71-_ZN9rocsparseL51gtsv_nopivot_strided_batch_crpcr_pow2_shared_kernelILj256ELj64E21rocsparse_complex_numIdEEEviiiPKT1_S5_S5_PS3_
                                        ; -- End function
	.section	.AMDGPU.csdata,"",@progbits
; Kernel info:
; codeLenInByte = 9984
; NumSgprs: 18
; NumVgprs: 66
; ScratchSize: 0
; MemoryBound: 0
; FloatMode: 240
; IeeeMode: 1
; LDSByteSize: 46080 bytes/workgroup (compile time only)
; SGPRBlocks: 2
; VGPRBlocks: 8
; NumSGPRsForWavesPerEU: 18
; NumVGPRsForWavesPerEU: 66
; Occupancy: 4
; WaveLimiterHint : 0
; COMPUTE_PGM_RSRC2:SCRATCH_EN: 0
; COMPUTE_PGM_RSRC2:USER_SGPR: 15
; COMPUTE_PGM_RSRC2:TRAP_HANDLER: 0
; COMPUTE_PGM_RSRC2:TGID_X_EN: 1
; COMPUTE_PGM_RSRC2:TGID_Y_EN: 0
; COMPUTE_PGM_RSRC2:TGID_Z_EN: 0
; COMPUTE_PGM_RSRC2:TIDIG_COMP_CNT: 0
	.section	.text._ZN9rocsparseL44gtsv_nopivot_strided_batch_pcr_shared_kernelILj4E21rocsparse_complex_numIdEEEviiiPKT0_S5_S5_PS3_,"axG",@progbits,_ZN9rocsparseL44gtsv_nopivot_strided_batch_pcr_shared_kernelILj4E21rocsparse_complex_numIdEEEviiiPKT0_S5_S5_PS3_,comdat
	.globl	_ZN9rocsparseL44gtsv_nopivot_strided_batch_pcr_shared_kernelILj4E21rocsparse_complex_numIdEEEviiiPKT0_S5_S5_PS3_ ; -- Begin function _ZN9rocsparseL44gtsv_nopivot_strided_batch_pcr_shared_kernelILj4E21rocsparse_complex_numIdEEEviiiPKT0_S5_S5_PS3_
	.p2align	8
	.type	_ZN9rocsparseL44gtsv_nopivot_strided_batch_pcr_shared_kernelILj4E21rocsparse_complex_numIdEEEviiiPKT0_S5_S5_PS3_,@function
_ZN9rocsparseL44gtsv_nopivot_strided_batch_pcr_shared_kernelILj4E21rocsparse_complex_numIdEEEviiiPKT0_S5_S5_PS3_: ; @_ZN9rocsparseL44gtsv_nopivot_strided_batch_pcr_shared_kernelILj4E21rocsparse_complex_numIdEEEviiiPKT0_S5_S5_PS3_
; %bb.0:
	s_clause 0x1
	s_load_b32 s2, s[0:1], 0x8
	s_load_b32 s3, s[0:1], 0x0
	v_mov_b32_e32 v3, 0
	v_mov_b32_e32 v4, 0
	s_delay_alu instid0(VALU_DEP_1) | instskip(SKIP_4) | instid1(VALU_DEP_2)
	v_dual_mov_b32 v8, v4 :: v_dual_mov_b32 v7, v3
	v_dual_mov_b32 v10, v4 :: v_dual_mov_b32 v9, v3
	s_waitcnt lgkmcnt(0)
	v_mad_u64_u32 v[11:12], null, s15, s2, v[0:1]
	v_cmp_gt_i32_e64 s2, s3, v0
	v_ashrrev_i32_e32 v12, 31, v11
	s_delay_alu instid0(VALU_DEP_2)
	s_and_saveexec_b32 s4, s2
	s_cbranch_execz .LBB72_2
; %bb.1:
	s_load_b64 s[6:7], s[0:1], 0x10
	s_delay_alu instid0(VALU_DEP_1) | instskip(SKIP_1) | instid1(VALU_DEP_1)
	v_lshlrev_b64 v[1:2], 4, v[11:12]
	s_waitcnt lgkmcnt(0)
	v_add_co_u32 v1, vcc_lo, s6, v1
	s_delay_alu instid0(VALU_DEP_2)
	v_add_co_ci_u32_e32 v2, vcc_lo, s7, v2, vcc_lo
	global_load_b128 v[7:10], v[1:2], off
.LBB72_2:
	s_or_b32 exec_lo, exec_lo, s4
	v_dual_mov_b32 v6, v4 :: v_dual_lshlrev_b32 v13, 4, v0
	v_mov_b32_e32 v5, v3
	s_waitcnt vmcnt(0)
	ds_store_b128 v13, v[7:10]
	s_and_saveexec_b32 s4, s2
	s_cbranch_execz .LBB72_4
; %bb.3:
	s_load_b64 s[6:7], s[0:1], 0x18
	v_lshlrev_b64 v[1:2], 4, v[11:12]
	s_waitcnt lgkmcnt(0)
	s_delay_alu instid0(VALU_DEP_1) | instskip(NEXT) | instid1(VALU_DEP_2)
	v_add_co_u32 v1, vcc_lo, s6, v1
	v_add_co_ci_u32_e32 v2, vcc_lo, s7, v2, vcc_lo
	global_load_b128 v[3:6], v[1:2], off
.LBB72_4:
	s_or_b32 exec_lo, exec_lo, s4
	s_load_b64 s[4:5], s[0:1], 0x28
	v_mov_b32_e32 v1, 0
	v_mov_b32_e32 v2, 0
	s_waitcnt vmcnt(0)
	ds_store_b128 v13, v[3:6] offset:64
	v_dual_mov_b32 v8, v2 :: v_dual_mov_b32 v7, v1
	v_dual_mov_b32 v10, v2 :: v_dual_mov_b32 v9, v1
	s_and_saveexec_b32 s6, s2
	s_cbranch_execz .LBB72_6
; %bb.5:
	s_load_b64 s[0:1], s[0:1], 0x20
	v_lshlrev_b64 v[3:4], 4, v[11:12]
	s_waitcnt lgkmcnt(0)
	s_delay_alu instid0(VALU_DEP_1) | instskip(NEXT) | instid1(VALU_DEP_2)
	v_add_co_u32 v3, vcc_lo, s0, v3
	v_add_co_ci_u32_e32 v4, vcc_lo, s1, v4, vcc_lo
	global_load_b128 v[7:10], v[3:4], off
.LBB72_6:
	s_or_b32 exec_lo, exec_lo, s6
	v_or_b32_e32 v6, 64, v13
	v_or_b32_e32 v5, 0x80, v13
	v_dual_mov_b32 v4, v2 :: v_dual_mov_b32 v3, v1
	s_waitcnt vmcnt(0)
	ds_store_b128 v13, v[7:10] offset:128
	s_and_saveexec_b32 s0, s2
	s_cbranch_execz .LBB72_8
; %bb.7:
	v_lshlrev_b64 v[1:2], 4, v[11:12]
	s_waitcnt lgkmcnt(0)
	s_delay_alu instid0(VALU_DEP_1) | instskip(NEXT) | instid1(VALU_DEP_2)
	v_add_co_u32 v1, vcc_lo, s4, v1
	v_add_co_ci_u32_e32 v2, vcc_lo, s5, v2, vcc_lo
	global_load_b128 v[1:4], v[1:2], off
.LBB72_8:
	s_or_b32 exec_lo, exec_lo, s0
	v_max_u32_e32 v7, 1, v0
	s_waitcnt vmcnt(0)
	ds_store_b128 v13, v[1:4] offset:256
	s_waitcnt vmcnt(0) lgkmcnt(0)
	s_waitcnt_vscnt null, 0x0
	; wave barrier
	s_waitcnt lgkmcnt(0)
	buffer_gl0_inv
	v_add_nc_u32_e32 v14, 1, v0
	v_lshlrev_b32_e32 v54, 4, v7
	s_add_i32 s0, s3, -1
	s_delay_alu instid0(VALU_DEP_2) | instskip(SKIP_3) | instid1(VALU_DEP_1)
	v_cmp_gt_i32_e32 vcc_lo, s3, v14
	ds_load_b128 v[1:4], v54 offset:48
	ds_load_b128 v[7:10], v54 offset:112
	v_cndmask_b32_e32 v14, s0, v14, vcc_lo
	v_lshlrev_b32_e32 v56, 4, v14
	ds_load_b128 v[14:17], v56 offset:64
	ds_load_b128 v[18:21], v56
	s_waitcnt lgkmcnt(3)
	v_mul_f64 v[22:23], v[3:4], v[3:4]
	s_waitcnt lgkmcnt(1)
	v_mul_f64 v[24:25], v[16:17], v[16:17]
	s_delay_alu instid0(VALU_DEP_2) | instskip(NEXT) | instid1(VALU_DEP_2)
	v_fma_f64 v[38:39], v[1:2], v[1:2], v[22:23]
	v_fma_f64 v[40:41], v[14:15], v[14:15], v[24:25]
	s_delay_alu instid0(VALU_DEP_2) | instskip(SKIP_1) | instid1(VALU_DEP_3)
	v_div_scale_f64 v[22:23], null, v[38:39], v[38:39], 1.0
	v_div_scale_f64 v[34:35], vcc_lo, 1.0, v[38:39], 1.0
	v_div_scale_f64 v[30:31], null, v[40:41], v[40:41], 1.0
	v_div_scale_f64 v[42:43], s0, 1.0, v[40:41], 1.0
	s_delay_alu instid0(VALU_DEP_4) | instskip(NEXT) | instid1(VALU_DEP_2)
	v_rcp_f64_e32 v[24:25], v[22:23]
	v_rcp_f64_e32 v[26:27], v[30:31]
	s_waitcnt_depctr 0xfff
	v_fma_f64 v[28:29], -v[22:23], v[24:25], 1.0
	v_fma_f64 v[32:33], -v[30:31], v[26:27], 1.0
	s_delay_alu instid0(VALU_DEP_2) | instskip(NEXT) | instid1(VALU_DEP_2)
	v_fma_f64 v[24:25], v[24:25], v[28:29], v[24:25]
	v_fma_f64 v[26:27], v[26:27], v[32:33], v[26:27]
	s_delay_alu instid0(VALU_DEP_2) | instskip(NEXT) | instid1(VALU_DEP_2)
	v_fma_f64 v[28:29], -v[22:23], v[24:25], 1.0
	v_fma_f64 v[32:33], -v[30:31], v[26:27], 1.0
	s_delay_alu instid0(VALU_DEP_2) | instskip(NEXT) | instid1(VALU_DEP_2)
	v_fma_f64 v[36:37], v[24:25], v[28:29], v[24:25]
	v_fma_f64 v[44:45], v[26:27], v[32:33], v[26:27]
	s_delay_alu instid0(VALU_DEP_2) | instskip(NEXT) | instid1(VALU_DEP_2)
	v_mul_f64 v[32:33], v[34:35], v[36:37]
	v_mul_f64 v[46:47], v[42:43], v[44:45]
	s_delay_alu instid0(VALU_DEP_2)
	v_fma_f64 v[34:35], -v[22:23], v[32:33], v[34:35]
	ds_load_b128 v[22:25], v13
	ds_load_b128 v[26:29], v13 offset:256
	v_fma_f64 v[42:43], -v[30:31], v[46:47], v[42:43]
	s_waitcnt lgkmcnt(1)
	v_mul_f64 v[48:49], v[3:4], -v[22:23]
	v_mul_f64 v[3:4], v[3:4], v[24:25]
	v_div_fmas_f64 v[50:51], v[34:35], v[36:37], v[32:33]
	ds_load_b128 v[30:33], v5
	ds_load_b128 v[34:37], v6
	s_mov_b32 vcc_lo, s0
	s_mov_b32 s0, exec_lo
	v_div_fmas_f64 v[42:43], v[42:43], v[44:45], v[46:47]
	s_waitcnt lgkmcnt(1)
	v_mul_f64 v[52:53], v[16:17], -v[30:31]
	v_fma_f64 v[24:25], v[24:25], v[1:2], v[48:49]
	v_mul_f64 v[16:17], v[16:17], v[32:33]
	v_fma_f64 v[22:23], v[22:23], v[1:2], v[3:4]
	ds_load_b128 v[1:4], v54 offset:240
	v_div_fixup_f64 v[38:39], v[50:51], v[38:39], 1.0
	v_div_fixup_f64 v[40:41], v[42:43], v[40:41], 1.0
	v_fma_f64 v[32:33], v[32:33], v[14:15], v[52:53]
	v_fma_f64 v[44:45], v[30:31], v[14:15], v[16:17]
	s_delay_alu instid0(VALU_DEP_4)
	v_mul_f64 v[42:43], v[38:39], v[24:25]
	v_add_nc_u32_e32 v24, -16, v54
	v_mul_f64 v[38:39], v[38:39], v[22:23]
	ds_load_b128 v[14:17], v24
	v_mul_f64 v[46:47], v[40:41], v[32:33]
	ds_load_b128 v[22:25], v56 offset:256
	ds_load_b128 v[30:33], v56 offset:128
	v_mul_f64 v[40:41], v[40:41], v[44:45]
	s_waitcnt vmcnt(0) lgkmcnt(0)
	s_waitcnt_vscnt null, 0x0
	; wave barrier
	s_waitcnt lgkmcnt(0)
	buffer_gl0_inv
	v_mul_f64 v[48:49], v[42:43], -v[3:4]
	v_mul_f64 v[50:51], v[42:43], v[1:2]
	v_mul_f64 v[52:53], v[42:43], -v[9:10]
	v_mul_f64 v[54:55], v[42:43], v[7:8]
	;; [unrolled: 2-line block ×4, first 2 shown]
	v_fma_f64 v[1:2], v[1:2], v[38:39], v[48:49]
	v_fma_f64 v[3:4], v[3:4], v[38:39], v[50:51]
	;; [unrolled: 1-line block ×4, first 2 shown]
	v_mul_f64 v[48:49], v[42:43], v[16:17]
	v_mul_f64 v[42:43], v[42:43], -v[14:15]
	v_mul_f64 v[50:51], v[46:47], v[32:33]
	v_fma_f64 v[22:23], v[22:23], v[40:41], v[58:59]
	v_fma_f64 v[24:25], v[24:25], v[40:41], v[60:61]
	v_fma_f64 v[18:19], v[18:19], v[40:41], v[44:45]
	v_fma_f64 v[20:21], v[20:21], v[40:41], v[56:57]
	v_add_f64 v[26:27], v[26:27], -v[1:2]
	v_add_f64 v[28:29], v[28:29], -v[3:4]
	;; [unrolled: 1-line block ×4, first 2 shown]
	v_mul_f64 v[36:37], v[46:47], -v[30:31]
	v_fma_f64 v[1:2], -v[14:15], v[38:39], v[48:49]
	v_fma_f64 v[3:4], -v[16:17], v[38:39], v[42:43]
	;; [unrolled: 1-line block ×3, first 2 shown]
	v_add_f64 v[14:15], v[26:27], -v[22:23]
	v_add_f64 v[16:17], v[28:29], -v[24:25]
	;; [unrolled: 1-line block ×4, first 2 shown]
	v_fma_f64 v[9:10], -v[32:33], v[40:41], v[36:37]
	ds_store_b128 v13, v[14:17] offset:256
	ds_store_b128 v13, v[1:4]
	ds_store_b128 v6, v[18:21]
	;; [unrolled: 1-line block ×3, first 2 shown]
	s_waitcnt vmcnt(0) lgkmcnt(0)
	s_waitcnt_vscnt null, 0x0
	; wave barrier
	s_waitcnt lgkmcnt(0)
	buffer_gl0_inv
	v_cmpx_gt_u32_e32 2, v0
	s_cbranch_execz .LBB72_14
; %bb.9:
	v_or_b32_e32 v7, 2, v0
	v_or_b32_e32 v8, 0x100, v13
	s_mov_b32 s1, exec_lo
                                        ; implicit-def: $vgpr3_vgpr4
	s_delay_alu instid0(VALU_DEP_2)
	v_cmpx_le_i32_e64 s3, v7
	s_xor_b32 s1, exec_lo, s1
	s_cbranch_execz .LBB72_11
; %bb.10:
	ds_load_b128 v[1:4], v6
	ds_load_b128 v[5:8], v8
	s_waitcnt lgkmcnt(1)
	v_mul_f64 v[9:10], v[3:4], v[3:4]
	s_delay_alu instid0(VALU_DEP_1) | instskip(NEXT) | instid1(VALU_DEP_1)
	v_fma_f64 v[9:10], v[1:2], v[1:2], v[9:10]
	v_div_scale_f64 v[14:15], null, v[9:10], v[9:10], 1.0
	v_div_scale_f64 v[20:21], vcc_lo, 1.0, v[9:10], 1.0
	s_delay_alu instid0(VALU_DEP_2) | instskip(SKIP_2) | instid1(VALU_DEP_1)
	v_rcp_f64_e32 v[16:17], v[14:15]
	s_waitcnt_depctr 0xfff
	v_fma_f64 v[18:19], -v[14:15], v[16:17], 1.0
	v_fma_f64 v[16:17], v[16:17], v[18:19], v[16:17]
	s_delay_alu instid0(VALU_DEP_1) | instskip(NEXT) | instid1(VALU_DEP_1)
	v_fma_f64 v[18:19], -v[14:15], v[16:17], 1.0
	v_fma_f64 v[16:17], v[16:17], v[18:19], v[16:17]
	s_delay_alu instid0(VALU_DEP_1) | instskip(NEXT) | instid1(VALU_DEP_1)
	v_mul_f64 v[18:19], v[20:21], v[16:17]
	v_fma_f64 v[14:15], -v[14:15], v[18:19], v[20:21]
	s_waitcnt lgkmcnt(0)
	v_mul_f64 v[20:21], v[3:4], v[7:8]
	v_mul_f64 v[3:4], v[3:4], -v[5:6]
	s_delay_alu instid0(VALU_DEP_3) | instskip(NEXT) | instid1(VALU_DEP_3)
	v_div_fmas_f64 v[14:15], v[14:15], v[16:17], v[18:19]
	v_fma_f64 v[5:6], v[5:6], v[1:2], v[20:21]
	s_delay_alu instid0(VALU_DEP_3) | instskip(NEXT) | instid1(VALU_DEP_3)
	v_fma_f64 v[3:4], v[7:8], v[1:2], v[3:4]
                                        ; implicit-def: $vgpr8
                                        ; implicit-def: $vgpr7
	v_div_fixup_f64 v[9:10], v[14:15], v[9:10], 1.0
	s_delay_alu instid0(VALU_DEP_1) | instskip(NEXT) | instid1(VALU_DEP_3)
	v_mul_f64 v[1:2], v[9:10], v[5:6]
	v_mul_f64 v[3:4], v[9:10], v[3:4]
                                        ; implicit-def: $vgpr6
                                        ; implicit-def: $vgpr5
.LBB72_11:
	s_and_not1_saveexec_b32 s1, s1
	s_cbranch_execz .LBB72_13
; %bb.12:
	ds_load_b128 v[0:3], v6
	ds_load_b128 v[14:17], v13 offset:32
	ds_load_b128 v[18:21], v6 offset:32
	ds_load_b128 v[22:25], v5
	s_waitcnt lgkmcnt(1)
	v_mul_f64 v[4:5], v[2:3], v[18:19]
	s_waitcnt lgkmcnt(0)
	v_mul_f64 v[9:10], v[16:17], v[22:23]
	v_mul_f64 v[26:27], v[2:3], -v[20:21]
	v_mul_f64 v[28:29], v[16:17], -v[24:25]
	s_delay_alu instid0(VALU_DEP_4) | instskip(NEXT) | instid1(VALU_DEP_4)
	v_fma_f64 v[4:5], v[20:21], v[0:1], v[4:5]
	v_fma_f64 v[9:10], v[24:25], v[14:15], v[9:10]
	s_delay_alu instid0(VALU_DEP_4) | instskip(NEXT) | instid1(VALU_DEP_4)
	v_fma_f64 v[26:27], v[18:19], v[0:1], v[26:27]
	v_fma_f64 v[28:29], v[22:23], v[14:15], v[28:29]
	s_delay_alu instid0(VALU_DEP_3) | instskip(NEXT) | instid1(VALU_DEP_2)
	v_add_f64 v[4:5], v[4:5], -v[9:10]
	v_add_f64 v[9:10], v[26:27], -v[28:29]
	s_delay_alu instid0(VALU_DEP_2) | instskip(NEXT) | instid1(VALU_DEP_1)
	v_mul_f64 v[26:27], v[4:5], v[4:5]
	v_fma_f64 v[34:35], v[9:10], v[9:10], v[26:27]
	s_delay_alu instid0(VALU_DEP_1) | instskip(SKIP_1) | instid1(VALU_DEP_2)
	v_div_scale_f64 v[26:27], null, v[34:35], v[34:35], 1.0
	v_div_scale_f64 v[32:33], vcc_lo, 1.0, v[34:35], 1.0
	v_rcp_f64_e32 v[28:29], v[26:27]
	s_waitcnt_depctr 0xfff
	v_fma_f64 v[30:31], -v[26:27], v[28:29], 1.0
	s_delay_alu instid0(VALU_DEP_1) | instskip(NEXT) | instid1(VALU_DEP_1)
	v_fma_f64 v[28:29], v[28:29], v[30:31], v[28:29]
	v_fma_f64 v[30:31], -v[26:27], v[28:29], 1.0
	s_delay_alu instid0(VALU_DEP_1) | instskip(NEXT) | instid1(VALU_DEP_1)
	v_fma_f64 v[36:37], v[28:29], v[30:31], v[28:29]
	v_mul_f64 v[38:39], v[32:33], v[36:37]
	s_delay_alu instid0(VALU_DEP_1)
	v_fma_f64 v[40:41], -v[26:27], v[38:39], v[32:33]
	ds_load_b128 v[26:29], v8
	ds_load_b128 v[30:33], v8 offset:32
	s_waitcnt lgkmcnt(1)
	v_mul_f64 v[42:43], v[28:29], -v[20:21]
	v_mul_f64 v[44:45], v[18:19], v[28:29]
	s_waitcnt lgkmcnt(0)
	v_mul_f64 v[46:47], v[32:33], -v[24:25]
	v_mul_f64 v[48:49], v[22:23], v[32:33]
	v_mul_f64 v[50:51], v[2:3], -v[32:33]
	v_mul_f64 v[2:3], v[2:3], v[30:31]
	v_div_fmas_f64 v[36:37], v[40:41], v[36:37], v[38:39]
	v_mul_f64 v[38:39], v[16:17], v[26:27]
	v_mul_f64 v[16:17], v[16:17], -v[28:29]
	v_fma_f64 v[40:41], v[9:10], 0, -v[4:5]
	v_fma_f64 v[4:5], v[4:5], 0, v[9:10]
	v_fma_f64 v[18:19], v[18:19], v[26:27], v[42:43]
	;; [unrolled: 1-line block ×7, first 2 shown]
	v_div_fixup_f64 v[34:35], v[36:37], v[34:35], 1.0
	v_fma_f64 v[2:3], v[28:29], v[14:15], v[38:39]
	v_fma_f64 v[14:15], v[26:27], v[14:15], v[16:17]
	v_add_f64 v[18:19], v[18:19], -v[22:23]
	v_add_f64 v[16:17], v[20:21], -v[24:25]
	v_mul_f64 v[8:9], v[40:41], v[34:35]
	v_add_f64 v[20:21], v[0:1], -v[2:3]
	v_add_f64 v[0:1], v[30:31], -v[14:15]
	v_mul_f64 v[3:4], v[4:5], v[34:35]
	s_delay_alu instid0(VALU_DEP_4) | instskip(SKIP_3) | instid1(VALU_DEP_4)
	v_mul_f64 v[5:6], v[8:9], -v[16:17]
	v_mul_f64 v[22:23], v[8:9], v[18:19]
	v_mul_f64 v[24:25], v[8:9], -v[20:21]
	v_mul_f64 v[8:9], v[8:9], v[0:1]
	v_fma_f64 v[14:15], v[18:19], v[3:4], v[5:6]
	s_delay_alu instid0(VALU_DEP_4) | instskip(NEXT) | instid1(VALU_DEP_4)
	v_fma_f64 v[16:17], v[16:17], v[3:4], v[22:23]
	v_fma_f64 v[1:2], v[0:1], v[3:4], v[24:25]
	s_delay_alu instid0(VALU_DEP_4)
	v_fma_f64 v[3:4], v[20:21], v[3:4], v[8:9]
	v_mov_b32_e32 v0, v7
	ds_store_b128 v13, v[14:17] offset:192
.LBB72_13:
	s_or_b32 exec_lo, exec_lo, s1
	v_lshlrev_b32_e32 v0, 4, v0
	ds_store_b128 v0, v[1:4] offset:192
.LBB72_14:
	s_or_b32 exec_lo, exec_lo, s0
	s_waitcnt vmcnt(0) lgkmcnt(0)
	s_waitcnt_vscnt null, 0x0
	; wave barrier
	s_waitcnt lgkmcnt(0)
	buffer_gl0_inv
	s_and_saveexec_b32 s0, s2
	s_cbranch_execz .LBB72_16
; %bb.15:
	ds_load_2addr_b64 v[0:3], v13 offset0:24 offset1:25
	v_lshlrev_b64 v[4:5], 4, v[11:12]
	s_delay_alu instid0(VALU_DEP_1) | instskip(NEXT) | instid1(VALU_DEP_2)
	v_add_co_u32 v4, vcc_lo, s4, v4
	v_add_co_ci_u32_e32 v5, vcc_lo, s5, v5, vcc_lo
	s_waitcnt lgkmcnt(0)
	global_store_b128 v[4:5], v[0:3], off
.LBB72_16:
	s_nop 0
	s_sendmsg sendmsg(MSG_DEALLOC_VGPRS)
	s_endpgm
	.section	.rodata,"a",@progbits
	.p2align	6, 0x0
	.amdhsa_kernel _ZN9rocsparseL44gtsv_nopivot_strided_batch_pcr_shared_kernelILj4E21rocsparse_complex_numIdEEEviiiPKT0_S5_S5_PS3_
		.amdhsa_group_segment_fixed_size 320
		.amdhsa_private_segment_fixed_size 0
		.amdhsa_kernarg_size 48
		.amdhsa_user_sgpr_count 15
		.amdhsa_user_sgpr_dispatch_ptr 0
		.amdhsa_user_sgpr_queue_ptr 0
		.amdhsa_user_sgpr_kernarg_segment_ptr 1
		.amdhsa_user_sgpr_dispatch_id 0
		.amdhsa_user_sgpr_private_segment_size 0
		.amdhsa_wavefront_size32 1
		.amdhsa_uses_dynamic_stack 0
		.amdhsa_enable_private_segment 0
		.amdhsa_system_sgpr_workgroup_id_x 1
		.amdhsa_system_sgpr_workgroup_id_y 0
		.amdhsa_system_sgpr_workgroup_id_z 0
		.amdhsa_system_sgpr_workgroup_info 0
		.amdhsa_system_vgpr_workitem_id 0
		.amdhsa_next_free_vgpr 62
		.amdhsa_next_free_sgpr 16
		.amdhsa_reserve_vcc 1
		.amdhsa_float_round_mode_32 0
		.amdhsa_float_round_mode_16_64 0
		.amdhsa_float_denorm_mode_32 3
		.amdhsa_float_denorm_mode_16_64 3
		.amdhsa_dx10_clamp 1
		.amdhsa_ieee_mode 1
		.amdhsa_fp16_overflow 0
		.amdhsa_workgroup_processor_mode 1
		.amdhsa_memory_ordered 1
		.amdhsa_forward_progress 0
		.amdhsa_shared_vgpr_count 0
		.amdhsa_exception_fp_ieee_invalid_op 0
		.amdhsa_exception_fp_denorm_src 0
		.amdhsa_exception_fp_ieee_div_zero 0
		.amdhsa_exception_fp_ieee_overflow 0
		.amdhsa_exception_fp_ieee_underflow 0
		.amdhsa_exception_fp_ieee_inexact 0
		.amdhsa_exception_int_div_zero 0
	.end_amdhsa_kernel
	.section	.text._ZN9rocsparseL44gtsv_nopivot_strided_batch_pcr_shared_kernelILj4E21rocsparse_complex_numIdEEEviiiPKT0_S5_S5_PS3_,"axG",@progbits,_ZN9rocsparseL44gtsv_nopivot_strided_batch_pcr_shared_kernelILj4E21rocsparse_complex_numIdEEEviiiPKT0_S5_S5_PS3_,comdat
.Lfunc_end72:
	.size	_ZN9rocsparseL44gtsv_nopivot_strided_batch_pcr_shared_kernelILj4E21rocsparse_complex_numIdEEEviiiPKT0_S5_S5_PS3_, .Lfunc_end72-_ZN9rocsparseL44gtsv_nopivot_strided_batch_pcr_shared_kernelILj4E21rocsparse_complex_numIdEEEviiiPKT0_S5_S5_PS3_
                                        ; -- End function
	.section	.AMDGPU.csdata,"",@progbits
; Kernel info:
; codeLenInByte = 2168
; NumSgprs: 18
; NumVgprs: 62
; ScratchSize: 0
; MemoryBound: 1
; FloatMode: 240
; IeeeMode: 1
; LDSByteSize: 320 bytes/workgroup (compile time only)
; SGPRBlocks: 2
; VGPRBlocks: 7
; NumSGPRsForWavesPerEU: 18
; NumVGPRsForWavesPerEU: 62
; Occupancy: 16
; WaveLimiterHint : 0
; COMPUTE_PGM_RSRC2:SCRATCH_EN: 0
; COMPUTE_PGM_RSRC2:USER_SGPR: 15
; COMPUTE_PGM_RSRC2:TRAP_HANDLER: 0
; COMPUTE_PGM_RSRC2:TGID_X_EN: 1
; COMPUTE_PGM_RSRC2:TGID_Y_EN: 0
; COMPUTE_PGM_RSRC2:TGID_Z_EN: 0
; COMPUTE_PGM_RSRC2:TIDIG_COMP_CNT: 0
	.section	.text._ZN9rocsparseL44gtsv_nopivot_strided_batch_pcr_shared_kernelILj8E21rocsparse_complex_numIdEEEviiiPKT0_S5_S5_PS3_,"axG",@progbits,_ZN9rocsparseL44gtsv_nopivot_strided_batch_pcr_shared_kernelILj8E21rocsparse_complex_numIdEEEviiiPKT0_S5_S5_PS3_,comdat
	.globl	_ZN9rocsparseL44gtsv_nopivot_strided_batch_pcr_shared_kernelILj8E21rocsparse_complex_numIdEEEviiiPKT0_S5_S5_PS3_ ; -- Begin function _ZN9rocsparseL44gtsv_nopivot_strided_batch_pcr_shared_kernelILj8E21rocsparse_complex_numIdEEEviiiPKT0_S5_S5_PS3_
	.p2align	8
	.type	_ZN9rocsparseL44gtsv_nopivot_strided_batch_pcr_shared_kernelILj8E21rocsparse_complex_numIdEEEviiiPKT0_S5_S5_PS3_,@function
_ZN9rocsparseL44gtsv_nopivot_strided_batch_pcr_shared_kernelILj8E21rocsparse_complex_numIdEEEviiiPKT0_S5_S5_PS3_: ; @_ZN9rocsparseL44gtsv_nopivot_strided_batch_pcr_shared_kernelILj8E21rocsparse_complex_numIdEEEviiiPKT0_S5_S5_PS3_
; %bb.0:
	s_clause 0x1
	s_load_b32 s2, s[0:1], 0x8
	s_load_b32 s3, s[0:1], 0x0
	v_mov_b32_e32 v3, 0
	v_mov_b32_e32 v4, 0
	s_delay_alu instid0(VALU_DEP_1) | instskip(SKIP_4) | instid1(VALU_DEP_2)
	v_dual_mov_b32 v8, v4 :: v_dual_mov_b32 v7, v3
	v_dual_mov_b32 v10, v4 :: v_dual_mov_b32 v9, v3
	s_waitcnt lgkmcnt(0)
	v_mad_u64_u32 v[11:12], null, s15, s2, v[0:1]
	v_cmp_gt_i32_e64 s2, s3, v0
	v_ashrrev_i32_e32 v12, 31, v11
	s_delay_alu instid0(VALU_DEP_2)
	s_and_saveexec_b32 s4, s2
	s_cbranch_execz .LBB73_2
; %bb.1:
	s_load_b64 s[6:7], s[0:1], 0x10
	s_delay_alu instid0(VALU_DEP_1) | instskip(SKIP_1) | instid1(VALU_DEP_1)
	v_lshlrev_b64 v[1:2], 4, v[11:12]
	s_waitcnt lgkmcnt(0)
	v_add_co_u32 v1, vcc_lo, s6, v1
	s_delay_alu instid0(VALU_DEP_2)
	v_add_co_ci_u32_e32 v2, vcc_lo, s7, v2, vcc_lo
	global_load_b128 v[7:10], v[1:2], off
.LBB73_2:
	s_or_b32 exec_lo, exec_lo, s4
	v_dual_mov_b32 v6, v4 :: v_dual_lshlrev_b32 v13, 4, v0
	v_mov_b32_e32 v5, v3
	s_waitcnt vmcnt(0)
	ds_store_b128 v13, v[7:10]
	s_and_saveexec_b32 s4, s2
	s_cbranch_execz .LBB73_4
; %bb.3:
	s_load_b64 s[6:7], s[0:1], 0x18
	v_lshlrev_b64 v[1:2], 4, v[11:12]
	s_waitcnt lgkmcnt(0)
	s_delay_alu instid0(VALU_DEP_1) | instskip(NEXT) | instid1(VALU_DEP_2)
	v_add_co_u32 v1, vcc_lo, s6, v1
	v_add_co_ci_u32_e32 v2, vcc_lo, s7, v2, vcc_lo
	global_load_b128 v[3:6], v[1:2], off
.LBB73_4:
	s_or_b32 exec_lo, exec_lo, s4
	s_load_b64 s[4:5], s[0:1], 0x28
	v_mov_b32_e32 v1, 0
	v_mov_b32_e32 v2, 0
	s_waitcnt vmcnt(0)
	ds_store_b128 v13, v[3:6] offset:128
	v_dual_mov_b32 v8, v2 :: v_dual_mov_b32 v7, v1
	v_dual_mov_b32 v10, v2 :: v_dual_mov_b32 v9, v1
	s_and_saveexec_b32 s6, s2
	s_cbranch_execz .LBB73_6
; %bb.5:
	s_load_b64 s[0:1], s[0:1], 0x20
	v_lshlrev_b64 v[3:4], 4, v[11:12]
	s_waitcnt lgkmcnt(0)
	s_delay_alu instid0(VALU_DEP_1) | instskip(NEXT) | instid1(VALU_DEP_2)
	v_add_co_u32 v3, vcc_lo, s0, v3
	v_add_co_ci_u32_e32 v4, vcc_lo, s1, v4, vcc_lo
	global_load_b128 v[7:10], v[3:4], off
.LBB73_6:
	s_or_b32 exec_lo, exec_lo, s6
	v_or_b32_e32 v6, 0x80, v13
	v_or_b32_e32 v5, 0x100, v13
	v_dual_mov_b32 v4, v2 :: v_dual_mov_b32 v3, v1
	s_waitcnt vmcnt(0)
	ds_store_b128 v13, v[7:10] offset:256
	s_and_saveexec_b32 s0, s2
	s_cbranch_execz .LBB73_8
; %bb.7:
	v_lshlrev_b64 v[1:2], 4, v[11:12]
	s_waitcnt lgkmcnt(0)
	s_delay_alu instid0(VALU_DEP_1) | instskip(NEXT) | instid1(VALU_DEP_2)
	v_add_co_u32 v1, vcc_lo, s4, v1
	v_add_co_ci_u32_e32 v2, vcc_lo, s5, v2, vcc_lo
	global_load_b128 v[1:4], v[1:2], off
.LBB73_8:
	s_or_b32 exec_lo, exec_lo, s0
	v_max_u32_e32 v7, 1, v0
	s_waitcnt vmcnt(0)
	ds_store_b128 v13, v[1:4] offset:512
	s_waitcnt vmcnt(0) lgkmcnt(0)
	s_waitcnt_vscnt null, 0x0
	; wave barrier
	s_waitcnt lgkmcnt(0)
	buffer_gl0_inv
	v_add_nc_u32_e32 v14, 1, v0
	v_lshlrev_b32_e32 v54, 4, v7
	s_add_i32 s1, s3, -1
	s_delay_alu instid0(VALU_DEP_2) | instskip(SKIP_3) | instid1(VALU_DEP_1)
	v_cmp_gt_i32_e32 vcc_lo, s3, v14
	ds_load_b128 v[1:4], v54 offset:112
	ds_load_b128 v[7:10], v54 offset:240
	v_cndmask_b32_e32 v14, s1, v14, vcc_lo
	v_lshlrev_b32_e32 v56, 4, v14
	ds_load_b128 v[14:17], v56 offset:128
	ds_load_b128 v[18:21], v56
	s_waitcnt lgkmcnt(3)
	v_mul_f64 v[22:23], v[3:4], v[3:4]
	s_waitcnt lgkmcnt(1)
	v_mul_f64 v[24:25], v[16:17], v[16:17]
	s_delay_alu instid0(VALU_DEP_2) | instskip(NEXT) | instid1(VALU_DEP_2)
	v_fma_f64 v[38:39], v[1:2], v[1:2], v[22:23]
	v_fma_f64 v[40:41], v[14:15], v[14:15], v[24:25]
	s_delay_alu instid0(VALU_DEP_2) | instskip(SKIP_1) | instid1(VALU_DEP_3)
	v_div_scale_f64 v[22:23], null, v[38:39], v[38:39], 1.0
	v_div_scale_f64 v[34:35], vcc_lo, 1.0, v[38:39], 1.0
	v_div_scale_f64 v[30:31], null, v[40:41], v[40:41], 1.0
	v_div_scale_f64 v[42:43], s0, 1.0, v[40:41], 1.0
	s_delay_alu instid0(VALU_DEP_4) | instskip(NEXT) | instid1(VALU_DEP_2)
	v_rcp_f64_e32 v[24:25], v[22:23]
	v_rcp_f64_e32 v[26:27], v[30:31]
	s_waitcnt_depctr 0xfff
	v_fma_f64 v[28:29], -v[22:23], v[24:25], 1.0
	v_fma_f64 v[32:33], -v[30:31], v[26:27], 1.0
	s_delay_alu instid0(VALU_DEP_2) | instskip(NEXT) | instid1(VALU_DEP_2)
	v_fma_f64 v[24:25], v[24:25], v[28:29], v[24:25]
	v_fma_f64 v[26:27], v[26:27], v[32:33], v[26:27]
	s_delay_alu instid0(VALU_DEP_2) | instskip(NEXT) | instid1(VALU_DEP_2)
	v_fma_f64 v[28:29], -v[22:23], v[24:25], 1.0
	v_fma_f64 v[32:33], -v[30:31], v[26:27], 1.0
	s_delay_alu instid0(VALU_DEP_2) | instskip(NEXT) | instid1(VALU_DEP_2)
	v_fma_f64 v[36:37], v[24:25], v[28:29], v[24:25]
	v_fma_f64 v[44:45], v[26:27], v[32:33], v[26:27]
	s_delay_alu instid0(VALU_DEP_2) | instskip(NEXT) | instid1(VALU_DEP_2)
	v_mul_f64 v[32:33], v[34:35], v[36:37]
	v_mul_f64 v[46:47], v[42:43], v[44:45]
	s_delay_alu instid0(VALU_DEP_2)
	v_fma_f64 v[34:35], -v[22:23], v[32:33], v[34:35]
	ds_load_b128 v[22:25], v13
	ds_load_b128 v[26:29], v13 offset:512
	v_fma_f64 v[42:43], -v[30:31], v[46:47], v[42:43]
	s_waitcnt lgkmcnt(1)
	v_mul_f64 v[48:49], v[3:4], -v[22:23]
	v_mul_f64 v[3:4], v[3:4], v[24:25]
	v_div_fmas_f64 v[50:51], v[34:35], v[36:37], v[32:33]
	ds_load_b128 v[30:33], v5
	ds_load_b128 v[34:37], v6
	s_mov_b32 vcc_lo, s0
	v_div_fmas_f64 v[42:43], v[42:43], v[44:45], v[46:47]
	s_waitcnt lgkmcnt(1)
	v_mul_f64 v[52:53], v[16:17], -v[30:31]
	v_fma_f64 v[24:25], v[24:25], v[1:2], v[48:49]
	v_mul_f64 v[16:17], v[16:17], v[32:33]
	v_fma_f64 v[22:23], v[22:23], v[1:2], v[3:4]
	ds_load_b128 v[1:4], v54 offset:496
	v_div_fixup_f64 v[38:39], v[50:51], v[38:39], 1.0
	v_div_fixup_f64 v[40:41], v[42:43], v[40:41], 1.0
	v_fma_f64 v[32:33], v[32:33], v[14:15], v[52:53]
	v_fma_f64 v[44:45], v[30:31], v[14:15], v[16:17]
	s_delay_alu instid0(VALU_DEP_4)
	v_mul_f64 v[42:43], v[38:39], v[24:25]
	v_add_nc_u32_e32 v24, -16, v54
	v_mul_f64 v[38:39], v[38:39], v[22:23]
	ds_load_b128 v[14:17], v24
	v_mul_f64 v[46:47], v[40:41], v[32:33]
	ds_load_b128 v[22:25], v56 offset:512
	ds_load_b128 v[30:33], v56 offset:256
	v_mul_f64 v[40:41], v[40:41], v[44:45]
	s_waitcnt vmcnt(0) lgkmcnt(0)
	s_waitcnt_vscnt null, 0x0
	; wave barrier
	s_waitcnt lgkmcnt(0)
	buffer_gl0_inv
	v_mul_f64 v[48:49], v[42:43], -v[3:4]
	v_mul_f64 v[50:51], v[42:43], v[1:2]
	v_mul_f64 v[52:53], v[42:43], -v[9:10]
	v_mul_f64 v[54:55], v[42:43], v[7:8]
	;; [unrolled: 2-line block ×4, first 2 shown]
	v_fma_f64 v[1:2], v[1:2], v[38:39], v[48:49]
	v_fma_f64 v[3:4], v[3:4], v[38:39], v[50:51]
	;; [unrolled: 1-line block ×4, first 2 shown]
	v_mul_f64 v[48:49], v[42:43], v[16:17]
	v_mul_f64 v[42:43], v[42:43], -v[14:15]
	v_mul_f64 v[50:51], v[46:47], v[32:33]
	v_fma_f64 v[22:23], v[22:23], v[40:41], v[58:59]
	v_fma_f64 v[24:25], v[24:25], v[40:41], v[60:61]
	;; [unrolled: 1-line block ×4, first 2 shown]
	v_add_f64 v[26:27], v[26:27], -v[1:2]
	v_add_f64 v[28:29], v[28:29], -v[3:4]
	;; [unrolled: 1-line block ×4, first 2 shown]
	v_mul_f64 v[36:37], v[46:47], -v[30:31]
	v_fma_f64 v[1:2], -v[14:15], v[38:39], v[48:49]
	v_fma_f64 v[3:4], -v[16:17], v[38:39], v[42:43]
	;; [unrolled: 1-line block ×3, first 2 shown]
	v_add_f64 v[14:15], v[26:27], -v[22:23]
	v_add_f64 v[16:17], v[28:29], -v[24:25]
	;; [unrolled: 1-line block ×4, first 2 shown]
	v_fma_f64 v[9:10], -v[32:33], v[40:41], v[36:37]
	v_max_u32_e32 v22, 2, v0
	ds_store_b128 v13, v[14:17] offset:512
	ds_store_b128 v13, v[1:4]
	ds_store_b128 v6, v[18:21]
	;; [unrolled: 1-line block ×3, first 2 shown]
	v_lshlrev_b32_e32 v54, 4, v22
	s_waitcnt vmcnt(0) lgkmcnt(0)
	s_waitcnt_vscnt null, 0x0
	; wave barrier
	s_waitcnt lgkmcnt(0)
	buffer_gl0_inv
	v_add_nc_u32_e32 v14, 2, v0
	ds_load_b128 v[1:4], v54 offset:96
	ds_load_b128 v[7:10], v54 offset:224
	v_cmp_gt_i32_e32 vcc_lo, s3, v14
	v_cndmask_b32_e32 v14, s1, v14, vcc_lo
	s_delay_alu instid0(VALU_DEP_1)
	v_lshlrev_b32_e32 v56, 4, v14
	ds_load_b128 v[14:17], v56 offset:128
	ds_load_b128 v[18:21], v56
	s_waitcnt lgkmcnt(3)
	v_mul_f64 v[22:23], v[3:4], v[3:4]
	s_waitcnt lgkmcnt(1)
	v_mul_f64 v[24:25], v[16:17], v[16:17]
	s_delay_alu instid0(VALU_DEP_2) | instskip(NEXT) | instid1(VALU_DEP_2)
	v_fma_f64 v[38:39], v[1:2], v[1:2], v[22:23]
	v_fma_f64 v[40:41], v[14:15], v[14:15], v[24:25]
	s_delay_alu instid0(VALU_DEP_2) | instskip(SKIP_1) | instid1(VALU_DEP_3)
	v_div_scale_f64 v[22:23], null, v[38:39], v[38:39], 1.0
	v_div_scale_f64 v[34:35], vcc_lo, 1.0, v[38:39], 1.0
	v_div_scale_f64 v[30:31], null, v[40:41], v[40:41], 1.0
	v_div_scale_f64 v[42:43], s0, 1.0, v[40:41], 1.0
	s_delay_alu instid0(VALU_DEP_4) | instskip(NEXT) | instid1(VALU_DEP_2)
	v_rcp_f64_e32 v[24:25], v[22:23]
	v_rcp_f64_e32 v[26:27], v[30:31]
	s_waitcnt_depctr 0xfff
	v_fma_f64 v[28:29], -v[22:23], v[24:25], 1.0
	v_fma_f64 v[32:33], -v[30:31], v[26:27], 1.0
	s_delay_alu instid0(VALU_DEP_2) | instskip(NEXT) | instid1(VALU_DEP_2)
	v_fma_f64 v[24:25], v[24:25], v[28:29], v[24:25]
	v_fma_f64 v[26:27], v[26:27], v[32:33], v[26:27]
	s_delay_alu instid0(VALU_DEP_2) | instskip(NEXT) | instid1(VALU_DEP_2)
	v_fma_f64 v[28:29], -v[22:23], v[24:25], 1.0
	v_fma_f64 v[32:33], -v[30:31], v[26:27], 1.0
	s_delay_alu instid0(VALU_DEP_2) | instskip(NEXT) | instid1(VALU_DEP_2)
	v_fma_f64 v[36:37], v[24:25], v[28:29], v[24:25]
	v_fma_f64 v[44:45], v[26:27], v[32:33], v[26:27]
	s_delay_alu instid0(VALU_DEP_2) | instskip(NEXT) | instid1(VALU_DEP_2)
	v_mul_f64 v[32:33], v[34:35], v[36:37]
	v_mul_f64 v[46:47], v[42:43], v[44:45]
	s_delay_alu instid0(VALU_DEP_2)
	v_fma_f64 v[34:35], -v[22:23], v[32:33], v[34:35]
	ds_load_b128 v[22:25], v13
	ds_load_b128 v[26:29], v13 offset:512
	v_fma_f64 v[42:43], -v[30:31], v[46:47], v[42:43]
	s_waitcnt lgkmcnt(1)
	v_mul_f64 v[48:49], v[3:4], -v[22:23]
	v_mul_f64 v[3:4], v[3:4], v[24:25]
	v_div_fmas_f64 v[50:51], v[34:35], v[36:37], v[32:33]
	ds_load_b128 v[30:33], v5
	ds_load_b128 v[34:37], v6
	s_mov_b32 vcc_lo, s0
	s_mov_b32 s0, exec_lo
	v_div_fmas_f64 v[42:43], v[42:43], v[44:45], v[46:47]
	s_waitcnt lgkmcnt(1)
	v_mul_f64 v[52:53], v[16:17], -v[30:31]
	v_fma_f64 v[24:25], v[24:25], v[1:2], v[48:49]
	v_mul_f64 v[16:17], v[16:17], v[32:33]
	v_fma_f64 v[22:23], v[22:23], v[1:2], v[3:4]
	ds_load_b128 v[1:4], v54 offset:480
	v_div_fixup_f64 v[38:39], v[50:51], v[38:39], 1.0
	v_div_fixup_f64 v[40:41], v[42:43], v[40:41], 1.0
	v_fma_f64 v[32:33], v[32:33], v[14:15], v[52:53]
	v_fma_f64 v[44:45], v[30:31], v[14:15], v[16:17]
	s_delay_alu instid0(VALU_DEP_4)
	v_mul_f64 v[42:43], v[38:39], v[24:25]
	v_subrev_nc_u32_e32 v24, 32, v54
	v_mul_f64 v[38:39], v[38:39], v[22:23]
	ds_load_b128 v[14:17], v24
	v_mul_f64 v[46:47], v[40:41], v[32:33]
	ds_load_b128 v[22:25], v56 offset:512
	ds_load_b128 v[30:33], v56 offset:256
	v_mul_f64 v[40:41], v[40:41], v[44:45]
	s_waitcnt vmcnt(0) lgkmcnt(0)
	s_waitcnt_vscnt null, 0x0
	; wave barrier
	s_waitcnt lgkmcnt(0)
	buffer_gl0_inv
	v_mul_f64 v[48:49], v[42:43], -v[3:4]
	v_mul_f64 v[50:51], v[42:43], v[1:2]
	v_mul_f64 v[52:53], v[42:43], -v[9:10]
	v_mul_f64 v[54:55], v[42:43], v[7:8]
	;; [unrolled: 2-line block ×4, first 2 shown]
	v_fma_f64 v[1:2], v[1:2], v[38:39], v[48:49]
	v_fma_f64 v[3:4], v[3:4], v[38:39], v[50:51]
	;; [unrolled: 1-line block ×4, first 2 shown]
	v_mul_f64 v[48:49], v[42:43], v[16:17]
	v_mul_f64 v[42:43], v[42:43], -v[14:15]
	v_mul_f64 v[50:51], v[46:47], v[32:33]
	v_fma_f64 v[22:23], v[22:23], v[40:41], v[58:59]
	v_fma_f64 v[24:25], v[24:25], v[40:41], v[60:61]
	;; [unrolled: 1-line block ×4, first 2 shown]
	v_add_f64 v[26:27], v[26:27], -v[1:2]
	v_add_f64 v[28:29], v[28:29], -v[3:4]
	;; [unrolled: 1-line block ×4, first 2 shown]
	v_mul_f64 v[36:37], v[46:47], -v[30:31]
	v_fma_f64 v[1:2], -v[14:15], v[38:39], v[48:49]
	v_fma_f64 v[3:4], -v[16:17], v[38:39], v[42:43]
	;; [unrolled: 1-line block ×3, first 2 shown]
	v_add_f64 v[14:15], v[26:27], -v[22:23]
	v_add_f64 v[16:17], v[28:29], -v[24:25]
	;; [unrolled: 1-line block ×4, first 2 shown]
	v_fma_f64 v[9:10], -v[32:33], v[40:41], v[36:37]
	ds_store_b128 v13, v[14:17] offset:512
	ds_store_b128 v13, v[1:4]
	ds_store_b128 v6, v[18:21]
	;; [unrolled: 1-line block ×3, first 2 shown]
	s_waitcnt vmcnt(0) lgkmcnt(0)
	s_waitcnt_vscnt null, 0x0
	; wave barrier
	s_waitcnt lgkmcnt(0)
	buffer_gl0_inv
	v_cmpx_gt_u32_e32 4, v0
	s_cbranch_execz .LBB73_14
; %bb.9:
	v_or_b32_e32 v7, 4, v0
	v_or_b32_e32 v8, 0x200, v13
	s_mov_b32 s1, exec_lo
                                        ; implicit-def: $vgpr3_vgpr4
	s_delay_alu instid0(VALU_DEP_2)
	v_cmpx_le_i32_e64 s3, v7
	s_xor_b32 s1, exec_lo, s1
	s_cbranch_execz .LBB73_11
; %bb.10:
	ds_load_b128 v[1:4], v6
	ds_load_b128 v[5:8], v8
	s_waitcnt lgkmcnt(1)
	v_mul_f64 v[9:10], v[3:4], v[3:4]
	s_delay_alu instid0(VALU_DEP_1) | instskip(NEXT) | instid1(VALU_DEP_1)
	v_fma_f64 v[9:10], v[1:2], v[1:2], v[9:10]
	v_div_scale_f64 v[14:15], null, v[9:10], v[9:10], 1.0
	v_div_scale_f64 v[20:21], vcc_lo, 1.0, v[9:10], 1.0
	s_delay_alu instid0(VALU_DEP_2) | instskip(SKIP_2) | instid1(VALU_DEP_1)
	v_rcp_f64_e32 v[16:17], v[14:15]
	s_waitcnt_depctr 0xfff
	v_fma_f64 v[18:19], -v[14:15], v[16:17], 1.0
	v_fma_f64 v[16:17], v[16:17], v[18:19], v[16:17]
	s_delay_alu instid0(VALU_DEP_1) | instskip(NEXT) | instid1(VALU_DEP_1)
	v_fma_f64 v[18:19], -v[14:15], v[16:17], 1.0
	v_fma_f64 v[16:17], v[16:17], v[18:19], v[16:17]
	s_delay_alu instid0(VALU_DEP_1) | instskip(NEXT) | instid1(VALU_DEP_1)
	v_mul_f64 v[18:19], v[20:21], v[16:17]
	v_fma_f64 v[14:15], -v[14:15], v[18:19], v[20:21]
	s_waitcnt lgkmcnt(0)
	v_mul_f64 v[20:21], v[3:4], v[7:8]
	v_mul_f64 v[3:4], v[3:4], -v[5:6]
	s_delay_alu instid0(VALU_DEP_3) | instskip(NEXT) | instid1(VALU_DEP_3)
	v_div_fmas_f64 v[14:15], v[14:15], v[16:17], v[18:19]
	v_fma_f64 v[5:6], v[5:6], v[1:2], v[20:21]
	s_delay_alu instid0(VALU_DEP_3) | instskip(NEXT) | instid1(VALU_DEP_3)
	v_fma_f64 v[3:4], v[7:8], v[1:2], v[3:4]
                                        ; implicit-def: $vgpr8
                                        ; implicit-def: $vgpr7
	v_div_fixup_f64 v[9:10], v[14:15], v[9:10], 1.0
	s_delay_alu instid0(VALU_DEP_1) | instskip(NEXT) | instid1(VALU_DEP_3)
	v_mul_f64 v[1:2], v[9:10], v[5:6]
	v_mul_f64 v[3:4], v[9:10], v[3:4]
                                        ; implicit-def: $vgpr6
                                        ; implicit-def: $vgpr5
.LBB73_11:
	s_and_not1_saveexec_b32 s1, s1
	s_cbranch_execz .LBB73_13
; %bb.12:
	ds_load_b128 v[0:3], v6
	ds_load_b128 v[14:17], v13 offset:64
	ds_load_b128 v[18:21], v6 offset:64
	ds_load_b128 v[22:25], v5
	s_waitcnt lgkmcnt(1)
	v_mul_f64 v[4:5], v[2:3], v[18:19]
	s_waitcnt lgkmcnt(0)
	v_mul_f64 v[9:10], v[16:17], v[22:23]
	v_mul_f64 v[26:27], v[2:3], -v[20:21]
	v_mul_f64 v[28:29], v[16:17], -v[24:25]
	s_delay_alu instid0(VALU_DEP_4) | instskip(NEXT) | instid1(VALU_DEP_4)
	v_fma_f64 v[4:5], v[20:21], v[0:1], v[4:5]
	v_fma_f64 v[9:10], v[24:25], v[14:15], v[9:10]
	s_delay_alu instid0(VALU_DEP_4) | instskip(NEXT) | instid1(VALU_DEP_4)
	v_fma_f64 v[26:27], v[18:19], v[0:1], v[26:27]
	v_fma_f64 v[28:29], v[22:23], v[14:15], v[28:29]
	s_delay_alu instid0(VALU_DEP_3) | instskip(NEXT) | instid1(VALU_DEP_2)
	v_add_f64 v[4:5], v[4:5], -v[9:10]
	v_add_f64 v[9:10], v[26:27], -v[28:29]
	s_delay_alu instid0(VALU_DEP_2) | instskip(NEXT) | instid1(VALU_DEP_1)
	v_mul_f64 v[26:27], v[4:5], v[4:5]
	v_fma_f64 v[34:35], v[9:10], v[9:10], v[26:27]
	s_delay_alu instid0(VALU_DEP_1) | instskip(SKIP_1) | instid1(VALU_DEP_2)
	v_div_scale_f64 v[26:27], null, v[34:35], v[34:35], 1.0
	v_div_scale_f64 v[32:33], vcc_lo, 1.0, v[34:35], 1.0
	v_rcp_f64_e32 v[28:29], v[26:27]
	s_waitcnt_depctr 0xfff
	v_fma_f64 v[30:31], -v[26:27], v[28:29], 1.0
	s_delay_alu instid0(VALU_DEP_1) | instskip(NEXT) | instid1(VALU_DEP_1)
	v_fma_f64 v[28:29], v[28:29], v[30:31], v[28:29]
	v_fma_f64 v[30:31], -v[26:27], v[28:29], 1.0
	s_delay_alu instid0(VALU_DEP_1) | instskip(NEXT) | instid1(VALU_DEP_1)
	v_fma_f64 v[36:37], v[28:29], v[30:31], v[28:29]
	v_mul_f64 v[38:39], v[32:33], v[36:37]
	s_delay_alu instid0(VALU_DEP_1)
	v_fma_f64 v[40:41], -v[26:27], v[38:39], v[32:33]
	ds_load_b128 v[26:29], v8
	ds_load_b128 v[30:33], v8 offset:64
	s_waitcnt lgkmcnt(1)
	v_mul_f64 v[42:43], v[28:29], -v[20:21]
	v_mul_f64 v[44:45], v[18:19], v[28:29]
	s_waitcnt lgkmcnt(0)
	v_mul_f64 v[46:47], v[32:33], -v[24:25]
	v_mul_f64 v[48:49], v[22:23], v[32:33]
	v_mul_f64 v[50:51], v[2:3], -v[32:33]
	v_mul_f64 v[2:3], v[2:3], v[30:31]
	v_div_fmas_f64 v[36:37], v[40:41], v[36:37], v[38:39]
	v_mul_f64 v[38:39], v[16:17], v[26:27]
	v_mul_f64 v[16:17], v[16:17], -v[28:29]
	v_fma_f64 v[40:41], v[9:10], 0, -v[4:5]
	v_fma_f64 v[4:5], v[4:5], 0, v[9:10]
	v_fma_f64 v[18:19], v[18:19], v[26:27], v[42:43]
	;; [unrolled: 1-line block ×7, first 2 shown]
	v_div_fixup_f64 v[34:35], v[36:37], v[34:35], 1.0
	v_fma_f64 v[2:3], v[28:29], v[14:15], v[38:39]
	v_fma_f64 v[14:15], v[26:27], v[14:15], v[16:17]
	v_add_f64 v[18:19], v[18:19], -v[22:23]
	v_add_f64 v[16:17], v[20:21], -v[24:25]
	v_mul_f64 v[8:9], v[40:41], v[34:35]
	v_add_f64 v[20:21], v[0:1], -v[2:3]
	v_add_f64 v[0:1], v[30:31], -v[14:15]
	v_mul_f64 v[3:4], v[4:5], v[34:35]
	s_delay_alu instid0(VALU_DEP_4) | instskip(SKIP_3) | instid1(VALU_DEP_4)
	v_mul_f64 v[5:6], v[8:9], -v[16:17]
	v_mul_f64 v[22:23], v[8:9], v[18:19]
	v_mul_f64 v[24:25], v[8:9], -v[20:21]
	v_mul_f64 v[8:9], v[8:9], v[0:1]
	v_fma_f64 v[14:15], v[18:19], v[3:4], v[5:6]
	s_delay_alu instid0(VALU_DEP_4) | instskip(NEXT) | instid1(VALU_DEP_4)
	v_fma_f64 v[16:17], v[16:17], v[3:4], v[22:23]
	v_fma_f64 v[1:2], v[0:1], v[3:4], v[24:25]
	s_delay_alu instid0(VALU_DEP_4)
	v_fma_f64 v[3:4], v[20:21], v[3:4], v[8:9]
	v_mov_b32_e32 v0, v7
	ds_store_b128 v13, v[14:17] offset:384
.LBB73_13:
	s_or_b32 exec_lo, exec_lo, s1
	v_lshlrev_b32_e32 v0, 4, v0
	ds_store_b128 v0, v[1:4] offset:384
.LBB73_14:
	s_or_b32 exec_lo, exec_lo, s0
	s_waitcnt vmcnt(0) lgkmcnt(0)
	s_waitcnt_vscnt null, 0x0
	; wave barrier
	s_waitcnt lgkmcnt(0)
	buffer_gl0_inv
	s_and_saveexec_b32 s0, s2
	s_cbranch_execz .LBB73_16
; %bb.15:
	ds_load_2addr_b64 v[0:3], v13 offset0:48 offset1:49
	v_lshlrev_b64 v[4:5], 4, v[11:12]
	s_delay_alu instid0(VALU_DEP_1) | instskip(NEXT) | instid1(VALU_DEP_2)
	v_add_co_u32 v4, vcc_lo, s4, v4
	v_add_co_ci_u32_e32 v5, vcc_lo, s5, v5, vcc_lo
	s_waitcnt lgkmcnt(0)
	global_store_b128 v[4:5], v[0:3], off
.LBB73_16:
	s_nop 0
	s_sendmsg sendmsg(MSG_DEALLOC_VGPRS)
	s_endpgm
	.section	.rodata,"a",@progbits
	.p2align	6, 0x0
	.amdhsa_kernel _ZN9rocsparseL44gtsv_nopivot_strided_batch_pcr_shared_kernelILj8E21rocsparse_complex_numIdEEEviiiPKT0_S5_S5_PS3_
		.amdhsa_group_segment_fixed_size 640
		.amdhsa_private_segment_fixed_size 0
		.amdhsa_kernarg_size 48
		.amdhsa_user_sgpr_count 15
		.amdhsa_user_sgpr_dispatch_ptr 0
		.amdhsa_user_sgpr_queue_ptr 0
		.amdhsa_user_sgpr_kernarg_segment_ptr 1
		.amdhsa_user_sgpr_dispatch_id 0
		.amdhsa_user_sgpr_private_segment_size 0
		.amdhsa_wavefront_size32 1
		.amdhsa_uses_dynamic_stack 0
		.amdhsa_enable_private_segment 0
		.amdhsa_system_sgpr_workgroup_id_x 1
		.amdhsa_system_sgpr_workgroup_id_y 0
		.amdhsa_system_sgpr_workgroup_id_z 0
		.amdhsa_system_sgpr_workgroup_info 0
		.amdhsa_system_vgpr_workitem_id 0
		.amdhsa_next_free_vgpr 62
		.amdhsa_next_free_sgpr 16
		.amdhsa_reserve_vcc 1
		.amdhsa_float_round_mode_32 0
		.amdhsa_float_round_mode_16_64 0
		.amdhsa_float_denorm_mode_32 3
		.amdhsa_float_denorm_mode_16_64 3
		.amdhsa_dx10_clamp 1
		.amdhsa_ieee_mode 1
		.amdhsa_fp16_overflow 0
		.amdhsa_workgroup_processor_mode 1
		.amdhsa_memory_ordered 1
		.amdhsa_forward_progress 0
		.amdhsa_shared_vgpr_count 0
		.amdhsa_exception_fp_ieee_invalid_op 0
		.amdhsa_exception_fp_denorm_src 0
		.amdhsa_exception_fp_ieee_div_zero 0
		.amdhsa_exception_fp_ieee_overflow 0
		.amdhsa_exception_fp_ieee_underflow 0
		.amdhsa_exception_fp_ieee_inexact 0
		.amdhsa_exception_int_div_zero 0
	.end_amdhsa_kernel
	.section	.text._ZN9rocsparseL44gtsv_nopivot_strided_batch_pcr_shared_kernelILj8E21rocsparse_complex_numIdEEEviiiPKT0_S5_S5_PS3_,"axG",@progbits,_ZN9rocsparseL44gtsv_nopivot_strided_batch_pcr_shared_kernelILj8E21rocsparse_complex_numIdEEEviiiPKT0_S5_S5_PS3_,comdat
.Lfunc_end73:
	.size	_ZN9rocsparseL44gtsv_nopivot_strided_batch_pcr_shared_kernelILj8E21rocsparse_complex_numIdEEEviiiPKT0_S5_S5_PS3_, .Lfunc_end73-_ZN9rocsparseL44gtsv_nopivot_strided_batch_pcr_shared_kernelILj8E21rocsparse_complex_numIdEEEviiiPKT0_S5_S5_PS3_
                                        ; -- End function
	.section	.AMDGPU.csdata,"",@progbits
; Kernel info:
; codeLenInByte = 2984
; NumSgprs: 18
; NumVgprs: 62
; ScratchSize: 0
; MemoryBound: 1
; FloatMode: 240
; IeeeMode: 1
; LDSByteSize: 640 bytes/workgroup (compile time only)
; SGPRBlocks: 2
; VGPRBlocks: 7
; NumSGPRsForWavesPerEU: 18
; NumVGPRsForWavesPerEU: 62
; Occupancy: 16
; WaveLimiterHint : 0
; COMPUTE_PGM_RSRC2:SCRATCH_EN: 0
; COMPUTE_PGM_RSRC2:USER_SGPR: 15
; COMPUTE_PGM_RSRC2:TRAP_HANDLER: 0
; COMPUTE_PGM_RSRC2:TGID_X_EN: 1
; COMPUTE_PGM_RSRC2:TGID_Y_EN: 0
; COMPUTE_PGM_RSRC2:TGID_Z_EN: 0
; COMPUTE_PGM_RSRC2:TIDIG_COMP_CNT: 0
	.section	.text._ZN9rocsparseL44gtsv_nopivot_strided_batch_pcr_shared_kernelILj16E21rocsparse_complex_numIdEEEviiiPKT0_S5_S5_PS3_,"axG",@progbits,_ZN9rocsparseL44gtsv_nopivot_strided_batch_pcr_shared_kernelILj16E21rocsparse_complex_numIdEEEviiiPKT0_S5_S5_PS3_,comdat
	.globl	_ZN9rocsparseL44gtsv_nopivot_strided_batch_pcr_shared_kernelILj16E21rocsparse_complex_numIdEEEviiiPKT0_S5_S5_PS3_ ; -- Begin function _ZN9rocsparseL44gtsv_nopivot_strided_batch_pcr_shared_kernelILj16E21rocsparse_complex_numIdEEEviiiPKT0_S5_S5_PS3_
	.p2align	8
	.type	_ZN9rocsparseL44gtsv_nopivot_strided_batch_pcr_shared_kernelILj16E21rocsparse_complex_numIdEEEviiiPKT0_S5_S5_PS3_,@function
_ZN9rocsparseL44gtsv_nopivot_strided_batch_pcr_shared_kernelILj16E21rocsparse_complex_numIdEEEviiiPKT0_S5_S5_PS3_: ; @_ZN9rocsparseL44gtsv_nopivot_strided_batch_pcr_shared_kernelILj16E21rocsparse_complex_numIdEEEviiiPKT0_S5_S5_PS3_
; %bb.0:
	s_clause 0x1
	s_load_b32 s2, s[0:1], 0x8
	s_load_b32 s3, s[0:1], 0x0
	v_mov_b32_e32 v3, 0
	v_mov_b32_e32 v4, 0
	s_delay_alu instid0(VALU_DEP_1) | instskip(SKIP_4) | instid1(VALU_DEP_2)
	v_dual_mov_b32 v8, v4 :: v_dual_mov_b32 v7, v3
	v_dual_mov_b32 v10, v4 :: v_dual_mov_b32 v9, v3
	s_waitcnt lgkmcnt(0)
	v_mad_u64_u32 v[11:12], null, s15, s2, v[0:1]
	v_cmp_gt_i32_e64 s2, s3, v0
	v_ashrrev_i32_e32 v12, 31, v11
	s_delay_alu instid0(VALU_DEP_2)
	s_and_saveexec_b32 s4, s2
	s_cbranch_execz .LBB74_2
; %bb.1:
	s_load_b64 s[6:7], s[0:1], 0x10
	s_delay_alu instid0(VALU_DEP_1) | instskip(SKIP_1) | instid1(VALU_DEP_1)
	v_lshlrev_b64 v[1:2], 4, v[11:12]
	s_waitcnt lgkmcnt(0)
	v_add_co_u32 v1, vcc_lo, s6, v1
	s_delay_alu instid0(VALU_DEP_2)
	v_add_co_ci_u32_e32 v2, vcc_lo, s7, v2, vcc_lo
	global_load_b128 v[7:10], v[1:2], off
.LBB74_2:
	s_or_b32 exec_lo, exec_lo, s4
	v_dual_mov_b32 v6, v4 :: v_dual_lshlrev_b32 v13, 4, v0
	v_mov_b32_e32 v5, v3
	s_waitcnt vmcnt(0)
	ds_store_b128 v13, v[7:10]
	s_and_saveexec_b32 s4, s2
	s_cbranch_execz .LBB74_4
; %bb.3:
	s_load_b64 s[6:7], s[0:1], 0x18
	v_lshlrev_b64 v[1:2], 4, v[11:12]
	s_waitcnt lgkmcnt(0)
	s_delay_alu instid0(VALU_DEP_1) | instskip(NEXT) | instid1(VALU_DEP_2)
	v_add_co_u32 v1, vcc_lo, s6, v1
	v_add_co_ci_u32_e32 v2, vcc_lo, s7, v2, vcc_lo
	global_load_b128 v[3:6], v[1:2], off
.LBB74_4:
	s_or_b32 exec_lo, exec_lo, s4
	s_load_b64 s[4:5], s[0:1], 0x28
	v_mov_b32_e32 v1, 0
	v_mov_b32_e32 v2, 0
	s_waitcnt vmcnt(0)
	ds_store_b128 v13, v[3:6] offset:256
	v_dual_mov_b32 v8, v2 :: v_dual_mov_b32 v7, v1
	v_dual_mov_b32 v10, v2 :: v_dual_mov_b32 v9, v1
	s_and_saveexec_b32 s6, s2
	s_cbranch_execz .LBB74_6
; %bb.5:
	s_load_b64 s[0:1], s[0:1], 0x20
	v_lshlrev_b64 v[3:4], 4, v[11:12]
	s_waitcnt lgkmcnt(0)
	s_delay_alu instid0(VALU_DEP_1) | instskip(NEXT) | instid1(VALU_DEP_2)
	v_add_co_u32 v3, vcc_lo, s0, v3
	v_add_co_ci_u32_e32 v4, vcc_lo, s1, v4, vcc_lo
	global_load_b128 v[7:10], v[3:4], off
.LBB74_6:
	s_or_b32 exec_lo, exec_lo, s6
	v_or_b32_e32 v6, 0x100, v13
	v_or_b32_e32 v5, 0x200, v13
	v_dual_mov_b32 v4, v2 :: v_dual_mov_b32 v3, v1
	s_waitcnt vmcnt(0)
	ds_store_b128 v13, v[7:10] offset:512
	s_and_saveexec_b32 s0, s2
	s_cbranch_execz .LBB74_8
; %bb.7:
	v_lshlrev_b64 v[1:2], 4, v[11:12]
	s_waitcnt lgkmcnt(0)
	s_delay_alu instid0(VALU_DEP_1) | instskip(NEXT) | instid1(VALU_DEP_2)
	v_add_co_u32 v1, vcc_lo, s4, v1
	v_add_co_ci_u32_e32 v2, vcc_lo, s5, v2, vcc_lo
	global_load_b128 v[1:4], v[1:2], off
.LBB74_8:
	s_or_b32 exec_lo, exec_lo, s0
	v_max_u32_e32 v7, 1, v0
	s_waitcnt vmcnt(0)
	ds_store_b128 v13, v[1:4] offset:1024
	s_waitcnt vmcnt(0) lgkmcnt(0)
	s_waitcnt_vscnt null, 0x0
	; wave barrier
	s_waitcnt lgkmcnt(0)
	buffer_gl0_inv
	v_add_nc_u32_e32 v14, 1, v0
	v_lshlrev_b32_e32 v54, 4, v7
	s_add_i32 s1, s3, -1
	s_delay_alu instid0(VALU_DEP_2) | instskip(SKIP_3) | instid1(VALU_DEP_1)
	v_cmp_gt_i32_e32 vcc_lo, s3, v14
	ds_load_b128 v[1:4], v54 offset:240
	ds_load_b128 v[7:10], v54 offset:496
	v_cndmask_b32_e32 v14, s1, v14, vcc_lo
	v_lshlrev_b32_e32 v56, 4, v14
	ds_load_b128 v[14:17], v56 offset:256
	ds_load_b128 v[18:21], v56
	s_waitcnt lgkmcnt(3)
	v_mul_f64 v[22:23], v[3:4], v[3:4]
	s_waitcnt lgkmcnt(1)
	v_mul_f64 v[24:25], v[16:17], v[16:17]
	s_delay_alu instid0(VALU_DEP_2) | instskip(NEXT) | instid1(VALU_DEP_2)
	v_fma_f64 v[38:39], v[1:2], v[1:2], v[22:23]
	v_fma_f64 v[40:41], v[14:15], v[14:15], v[24:25]
	s_delay_alu instid0(VALU_DEP_2) | instskip(SKIP_1) | instid1(VALU_DEP_3)
	v_div_scale_f64 v[22:23], null, v[38:39], v[38:39], 1.0
	v_div_scale_f64 v[34:35], vcc_lo, 1.0, v[38:39], 1.0
	v_div_scale_f64 v[30:31], null, v[40:41], v[40:41], 1.0
	v_div_scale_f64 v[42:43], s0, 1.0, v[40:41], 1.0
	s_delay_alu instid0(VALU_DEP_4) | instskip(NEXT) | instid1(VALU_DEP_2)
	v_rcp_f64_e32 v[24:25], v[22:23]
	v_rcp_f64_e32 v[26:27], v[30:31]
	s_waitcnt_depctr 0xfff
	v_fma_f64 v[28:29], -v[22:23], v[24:25], 1.0
	v_fma_f64 v[32:33], -v[30:31], v[26:27], 1.0
	s_delay_alu instid0(VALU_DEP_2) | instskip(NEXT) | instid1(VALU_DEP_2)
	v_fma_f64 v[24:25], v[24:25], v[28:29], v[24:25]
	v_fma_f64 v[26:27], v[26:27], v[32:33], v[26:27]
	s_delay_alu instid0(VALU_DEP_2) | instskip(NEXT) | instid1(VALU_DEP_2)
	v_fma_f64 v[28:29], -v[22:23], v[24:25], 1.0
	v_fma_f64 v[32:33], -v[30:31], v[26:27], 1.0
	s_delay_alu instid0(VALU_DEP_2) | instskip(NEXT) | instid1(VALU_DEP_2)
	v_fma_f64 v[36:37], v[24:25], v[28:29], v[24:25]
	v_fma_f64 v[44:45], v[26:27], v[32:33], v[26:27]
	s_delay_alu instid0(VALU_DEP_2) | instskip(NEXT) | instid1(VALU_DEP_2)
	v_mul_f64 v[32:33], v[34:35], v[36:37]
	v_mul_f64 v[46:47], v[42:43], v[44:45]
	s_delay_alu instid0(VALU_DEP_2)
	v_fma_f64 v[34:35], -v[22:23], v[32:33], v[34:35]
	ds_load_b128 v[22:25], v13
	ds_load_b128 v[26:29], v13 offset:1024
	v_fma_f64 v[42:43], -v[30:31], v[46:47], v[42:43]
	s_waitcnt lgkmcnt(1)
	v_mul_f64 v[48:49], v[3:4], -v[22:23]
	v_mul_f64 v[3:4], v[3:4], v[24:25]
	v_div_fmas_f64 v[50:51], v[34:35], v[36:37], v[32:33]
	ds_load_b128 v[30:33], v5
	ds_load_b128 v[34:37], v6
	s_mov_b32 vcc_lo, s0
	v_div_fmas_f64 v[42:43], v[42:43], v[44:45], v[46:47]
	s_waitcnt lgkmcnt(1)
	v_mul_f64 v[52:53], v[16:17], -v[30:31]
	v_fma_f64 v[24:25], v[24:25], v[1:2], v[48:49]
	v_mul_f64 v[16:17], v[16:17], v[32:33]
	v_fma_f64 v[22:23], v[22:23], v[1:2], v[3:4]
	ds_load_b128 v[1:4], v54 offset:1008
	v_div_fixup_f64 v[38:39], v[50:51], v[38:39], 1.0
	v_div_fixup_f64 v[40:41], v[42:43], v[40:41], 1.0
	v_fma_f64 v[32:33], v[32:33], v[14:15], v[52:53]
	v_fma_f64 v[44:45], v[30:31], v[14:15], v[16:17]
	s_delay_alu instid0(VALU_DEP_4)
	v_mul_f64 v[42:43], v[38:39], v[24:25]
	v_add_nc_u32_e32 v24, -16, v54
	v_mul_f64 v[38:39], v[38:39], v[22:23]
	ds_load_b128 v[14:17], v24
	v_mul_f64 v[46:47], v[40:41], v[32:33]
	ds_load_b128 v[22:25], v56 offset:1024
	ds_load_b128 v[30:33], v56 offset:512
	v_mul_f64 v[40:41], v[40:41], v[44:45]
	s_waitcnt vmcnt(0) lgkmcnt(0)
	s_waitcnt_vscnt null, 0x0
	; wave barrier
	s_waitcnt lgkmcnt(0)
	buffer_gl0_inv
	v_mul_f64 v[48:49], v[42:43], -v[3:4]
	v_mul_f64 v[50:51], v[42:43], v[1:2]
	v_mul_f64 v[52:53], v[42:43], -v[9:10]
	v_mul_f64 v[54:55], v[42:43], v[7:8]
	;; [unrolled: 2-line block ×4, first 2 shown]
	v_fma_f64 v[1:2], v[1:2], v[38:39], v[48:49]
	v_fma_f64 v[3:4], v[3:4], v[38:39], v[50:51]
	;; [unrolled: 1-line block ×4, first 2 shown]
	v_mul_f64 v[48:49], v[42:43], v[16:17]
	v_mul_f64 v[42:43], v[42:43], -v[14:15]
	v_mul_f64 v[50:51], v[46:47], v[32:33]
	v_fma_f64 v[22:23], v[22:23], v[40:41], v[58:59]
	v_fma_f64 v[24:25], v[24:25], v[40:41], v[60:61]
	;; [unrolled: 1-line block ×4, first 2 shown]
	v_add_f64 v[26:27], v[26:27], -v[1:2]
	v_add_f64 v[28:29], v[28:29], -v[3:4]
	v_add_f64 v[34:35], v[34:35], -v[7:8]
	v_add_f64 v[9:10], v[36:37], -v[9:10]
	v_mul_f64 v[36:37], v[46:47], -v[30:31]
	v_fma_f64 v[1:2], -v[14:15], v[38:39], v[48:49]
	v_fma_f64 v[3:4], -v[16:17], v[38:39], v[42:43]
	;; [unrolled: 1-line block ×3, first 2 shown]
	v_add_f64 v[14:15], v[26:27], -v[22:23]
	v_add_f64 v[16:17], v[28:29], -v[24:25]
	;; [unrolled: 1-line block ×4, first 2 shown]
	v_fma_f64 v[9:10], -v[32:33], v[40:41], v[36:37]
	v_max_u32_e32 v22, 2, v0
	ds_store_b128 v13, v[14:17] offset:1024
	ds_store_b128 v13, v[1:4]
	ds_store_b128 v6, v[18:21]
	;; [unrolled: 1-line block ×3, first 2 shown]
	v_lshlrev_b32_e32 v54, 4, v22
	s_waitcnt vmcnt(0) lgkmcnt(0)
	s_waitcnt_vscnt null, 0x0
	; wave barrier
	s_waitcnt lgkmcnt(0)
	buffer_gl0_inv
	v_add_nc_u32_e32 v14, 2, v0
	ds_load_b128 v[1:4], v54 offset:224
	ds_load_b128 v[7:10], v54 offset:480
	v_cmp_gt_i32_e32 vcc_lo, s3, v14
	v_cndmask_b32_e32 v14, s1, v14, vcc_lo
	s_delay_alu instid0(VALU_DEP_1)
	v_lshlrev_b32_e32 v56, 4, v14
	ds_load_b128 v[14:17], v56 offset:256
	ds_load_b128 v[18:21], v56
	s_waitcnt lgkmcnt(3)
	v_mul_f64 v[22:23], v[3:4], v[3:4]
	s_waitcnt lgkmcnt(1)
	v_mul_f64 v[24:25], v[16:17], v[16:17]
	s_delay_alu instid0(VALU_DEP_2) | instskip(NEXT) | instid1(VALU_DEP_2)
	v_fma_f64 v[38:39], v[1:2], v[1:2], v[22:23]
	v_fma_f64 v[40:41], v[14:15], v[14:15], v[24:25]
	s_delay_alu instid0(VALU_DEP_2) | instskip(SKIP_1) | instid1(VALU_DEP_3)
	v_div_scale_f64 v[22:23], null, v[38:39], v[38:39], 1.0
	v_div_scale_f64 v[34:35], vcc_lo, 1.0, v[38:39], 1.0
	v_div_scale_f64 v[30:31], null, v[40:41], v[40:41], 1.0
	v_div_scale_f64 v[42:43], s0, 1.0, v[40:41], 1.0
	s_delay_alu instid0(VALU_DEP_4) | instskip(NEXT) | instid1(VALU_DEP_2)
	v_rcp_f64_e32 v[24:25], v[22:23]
	v_rcp_f64_e32 v[26:27], v[30:31]
	s_waitcnt_depctr 0xfff
	v_fma_f64 v[28:29], -v[22:23], v[24:25], 1.0
	v_fma_f64 v[32:33], -v[30:31], v[26:27], 1.0
	s_delay_alu instid0(VALU_DEP_2) | instskip(NEXT) | instid1(VALU_DEP_2)
	v_fma_f64 v[24:25], v[24:25], v[28:29], v[24:25]
	v_fma_f64 v[26:27], v[26:27], v[32:33], v[26:27]
	s_delay_alu instid0(VALU_DEP_2) | instskip(NEXT) | instid1(VALU_DEP_2)
	v_fma_f64 v[28:29], -v[22:23], v[24:25], 1.0
	v_fma_f64 v[32:33], -v[30:31], v[26:27], 1.0
	s_delay_alu instid0(VALU_DEP_2) | instskip(NEXT) | instid1(VALU_DEP_2)
	v_fma_f64 v[36:37], v[24:25], v[28:29], v[24:25]
	v_fma_f64 v[44:45], v[26:27], v[32:33], v[26:27]
	s_delay_alu instid0(VALU_DEP_2) | instskip(NEXT) | instid1(VALU_DEP_2)
	v_mul_f64 v[32:33], v[34:35], v[36:37]
	v_mul_f64 v[46:47], v[42:43], v[44:45]
	s_delay_alu instid0(VALU_DEP_2)
	v_fma_f64 v[34:35], -v[22:23], v[32:33], v[34:35]
	ds_load_b128 v[22:25], v13
	ds_load_b128 v[26:29], v13 offset:1024
	v_fma_f64 v[42:43], -v[30:31], v[46:47], v[42:43]
	s_waitcnt lgkmcnt(1)
	v_mul_f64 v[48:49], v[3:4], -v[22:23]
	v_mul_f64 v[3:4], v[3:4], v[24:25]
	v_div_fmas_f64 v[50:51], v[34:35], v[36:37], v[32:33]
	ds_load_b128 v[30:33], v5
	ds_load_b128 v[34:37], v6
	s_mov_b32 vcc_lo, s0
	v_div_fmas_f64 v[42:43], v[42:43], v[44:45], v[46:47]
	s_waitcnt lgkmcnt(1)
	v_mul_f64 v[52:53], v[16:17], -v[30:31]
	v_fma_f64 v[24:25], v[24:25], v[1:2], v[48:49]
	v_mul_f64 v[16:17], v[16:17], v[32:33]
	v_fma_f64 v[22:23], v[22:23], v[1:2], v[3:4]
	ds_load_b128 v[1:4], v54 offset:992
	v_div_fixup_f64 v[38:39], v[50:51], v[38:39], 1.0
	v_div_fixup_f64 v[40:41], v[42:43], v[40:41], 1.0
	v_fma_f64 v[32:33], v[32:33], v[14:15], v[52:53]
	v_fma_f64 v[44:45], v[30:31], v[14:15], v[16:17]
	s_delay_alu instid0(VALU_DEP_4)
	v_mul_f64 v[42:43], v[38:39], v[24:25]
	v_subrev_nc_u32_e32 v24, 32, v54
	v_mul_f64 v[38:39], v[38:39], v[22:23]
	ds_load_b128 v[14:17], v24
	v_mul_f64 v[46:47], v[40:41], v[32:33]
	ds_load_b128 v[22:25], v56 offset:1024
	ds_load_b128 v[30:33], v56 offset:512
	v_mul_f64 v[40:41], v[40:41], v[44:45]
	s_waitcnt vmcnt(0) lgkmcnt(0)
	s_waitcnt_vscnt null, 0x0
	; wave barrier
	s_waitcnt lgkmcnt(0)
	buffer_gl0_inv
	v_mul_f64 v[48:49], v[42:43], -v[3:4]
	v_mul_f64 v[50:51], v[42:43], v[1:2]
	v_mul_f64 v[52:53], v[42:43], -v[9:10]
	v_mul_f64 v[54:55], v[42:43], v[7:8]
	;; [unrolled: 2-line block ×4, first 2 shown]
	v_fma_f64 v[1:2], v[1:2], v[38:39], v[48:49]
	v_fma_f64 v[3:4], v[3:4], v[38:39], v[50:51]
	;; [unrolled: 1-line block ×4, first 2 shown]
	v_mul_f64 v[48:49], v[42:43], v[16:17]
	v_mul_f64 v[42:43], v[42:43], -v[14:15]
	v_mul_f64 v[50:51], v[46:47], v[32:33]
	v_fma_f64 v[22:23], v[22:23], v[40:41], v[58:59]
	v_fma_f64 v[24:25], v[24:25], v[40:41], v[60:61]
	;; [unrolled: 1-line block ×4, first 2 shown]
	v_add_f64 v[26:27], v[26:27], -v[1:2]
	v_add_f64 v[28:29], v[28:29], -v[3:4]
	;; [unrolled: 1-line block ×4, first 2 shown]
	v_mul_f64 v[36:37], v[46:47], -v[30:31]
	v_fma_f64 v[1:2], -v[14:15], v[38:39], v[48:49]
	v_fma_f64 v[3:4], -v[16:17], v[38:39], v[42:43]
	v_fma_f64 v[7:8], -v[30:31], v[40:41], v[50:51]
	v_add_f64 v[14:15], v[26:27], -v[22:23]
	v_add_f64 v[16:17], v[28:29], -v[24:25]
	;; [unrolled: 1-line block ×4, first 2 shown]
	v_fma_f64 v[9:10], -v[32:33], v[40:41], v[36:37]
	v_max_u32_e32 v22, 4, v0
	ds_store_b128 v13, v[14:17] offset:1024
	ds_store_b128 v13, v[1:4]
	ds_store_b128 v6, v[18:21]
	;; [unrolled: 1-line block ×3, first 2 shown]
	v_lshlrev_b32_e32 v54, 4, v22
	s_waitcnt vmcnt(0) lgkmcnt(0)
	s_waitcnt_vscnt null, 0x0
	; wave barrier
	s_waitcnt lgkmcnt(0)
	buffer_gl0_inv
	v_add_nc_u32_e32 v14, 4, v0
	ds_load_b128 v[1:4], v54 offset:192
	ds_load_b128 v[7:10], v54 offset:448
	v_cmp_gt_i32_e32 vcc_lo, s3, v14
	v_cndmask_b32_e32 v14, s1, v14, vcc_lo
	s_delay_alu instid0(VALU_DEP_1)
	v_lshlrev_b32_e32 v56, 4, v14
	ds_load_b128 v[14:17], v56 offset:256
	ds_load_b128 v[18:21], v56
	s_waitcnt lgkmcnt(3)
	v_mul_f64 v[22:23], v[3:4], v[3:4]
	s_waitcnt lgkmcnt(1)
	v_mul_f64 v[24:25], v[16:17], v[16:17]
	s_delay_alu instid0(VALU_DEP_2) | instskip(NEXT) | instid1(VALU_DEP_2)
	v_fma_f64 v[38:39], v[1:2], v[1:2], v[22:23]
	v_fma_f64 v[40:41], v[14:15], v[14:15], v[24:25]
	s_delay_alu instid0(VALU_DEP_2) | instskip(SKIP_1) | instid1(VALU_DEP_3)
	v_div_scale_f64 v[22:23], null, v[38:39], v[38:39], 1.0
	v_div_scale_f64 v[34:35], vcc_lo, 1.0, v[38:39], 1.0
	v_div_scale_f64 v[30:31], null, v[40:41], v[40:41], 1.0
	v_div_scale_f64 v[42:43], s0, 1.0, v[40:41], 1.0
	s_delay_alu instid0(VALU_DEP_4) | instskip(NEXT) | instid1(VALU_DEP_2)
	v_rcp_f64_e32 v[24:25], v[22:23]
	v_rcp_f64_e32 v[26:27], v[30:31]
	s_waitcnt_depctr 0xfff
	v_fma_f64 v[28:29], -v[22:23], v[24:25], 1.0
	v_fma_f64 v[32:33], -v[30:31], v[26:27], 1.0
	s_delay_alu instid0(VALU_DEP_2) | instskip(NEXT) | instid1(VALU_DEP_2)
	v_fma_f64 v[24:25], v[24:25], v[28:29], v[24:25]
	v_fma_f64 v[26:27], v[26:27], v[32:33], v[26:27]
	s_delay_alu instid0(VALU_DEP_2) | instskip(NEXT) | instid1(VALU_DEP_2)
	v_fma_f64 v[28:29], -v[22:23], v[24:25], 1.0
	v_fma_f64 v[32:33], -v[30:31], v[26:27], 1.0
	s_delay_alu instid0(VALU_DEP_2) | instskip(NEXT) | instid1(VALU_DEP_2)
	v_fma_f64 v[36:37], v[24:25], v[28:29], v[24:25]
	v_fma_f64 v[44:45], v[26:27], v[32:33], v[26:27]
	s_delay_alu instid0(VALU_DEP_2) | instskip(NEXT) | instid1(VALU_DEP_2)
	v_mul_f64 v[32:33], v[34:35], v[36:37]
	v_mul_f64 v[46:47], v[42:43], v[44:45]
	s_delay_alu instid0(VALU_DEP_2)
	v_fma_f64 v[34:35], -v[22:23], v[32:33], v[34:35]
	ds_load_b128 v[22:25], v13
	ds_load_b128 v[26:29], v13 offset:1024
	v_fma_f64 v[42:43], -v[30:31], v[46:47], v[42:43]
	s_waitcnt lgkmcnt(1)
	v_mul_f64 v[48:49], v[3:4], -v[22:23]
	v_mul_f64 v[3:4], v[3:4], v[24:25]
	v_div_fmas_f64 v[50:51], v[34:35], v[36:37], v[32:33]
	ds_load_b128 v[30:33], v5
	ds_load_b128 v[34:37], v6
	s_mov_b32 vcc_lo, s0
	s_mov_b32 s0, exec_lo
	v_div_fmas_f64 v[42:43], v[42:43], v[44:45], v[46:47]
	s_waitcnt lgkmcnt(1)
	v_mul_f64 v[52:53], v[16:17], -v[30:31]
	v_fma_f64 v[24:25], v[24:25], v[1:2], v[48:49]
	v_mul_f64 v[16:17], v[16:17], v[32:33]
	v_fma_f64 v[22:23], v[22:23], v[1:2], v[3:4]
	ds_load_b128 v[1:4], v54 offset:960
	v_div_fixup_f64 v[38:39], v[50:51], v[38:39], 1.0
	v_div_fixup_f64 v[40:41], v[42:43], v[40:41], 1.0
	v_fma_f64 v[32:33], v[32:33], v[14:15], v[52:53]
	v_fma_f64 v[44:45], v[30:31], v[14:15], v[16:17]
	s_delay_alu instid0(VALU_DEP_4)
	v_mul_f64 v[42:43], v[38:39], v[24:25]
	v_subrev_nc_u32_e32 v24, 64, v54
	v_mul_f64 v[38:39], v[38:39], v[22:23]
	ds_load_b128 v[14:17], v24
	v_mul_f64 v[46:47], v[40:41], v[32:33]
	ds_load_b128 v[22:25], v56 offset:1024
	ds_load_b128 v[30:33], v56 offset:512
	v_mul_f64 v[40:41], v[40:41], v[44:45]
	s_waitcnt vmcnt(0) lgkmcnt(0)
	s_waitcnt_vscnt null, 0x0
	; wave barrier
	s_waitcnt lgkmcnt(0)
	buffer_gl0_inv
	v_mul_f64 v[48:49], v[42:43], -v[3:4]
	v_mul_f64 v[50:51], v[42:43], v[1:2]
	v_mul_f64 v[52:53], v[42:43], -v[9:10]
	v_mul_f64 v[54:55], v[42:43], v[7:8]
	;; [unrolled: 2-line block ×4, first 2 shown]
	v_fma_f64 v[1:2], v[1:2], v[38:39], v[48:49]
	v_fma_f64 v[3:4], v[3:4], v[38:39], v[50:51]
	;; [unrolled: 1-line block ×4, first 2 shown]
	v_mul_f64 v[48:49], v[42:43], v[16:17]
	v_mul_f64 v[42:43], v[42:43], -v[14:15]
	v_mul_f64 v[50:51], v[46:47], v[32:33]
	v_fma_f64 v[22:23], v[22:23], v[40:41], v[58:59]
	v_fma_f64 v[24:25], v[24:25], v[40:41], v[60:61]
	v_fma_f64 v[18:19], v[18:19], v[40:41], v[44:45]
	v_fma_f64 v[20:21], v[20:21], v[40:41], v[56:57]
	v_add_f64 v[26:27], v[26:27], -v[1:2]
	v_add_f64 v[28:29], v[28:29], -v[3:4]
	;; [unrolled: 1-line block ×4, first 2 shown]
	v_mul_f64 v[36:37], v[46:47], -v[30:31]
	v_fma_f64 v[1:2], -v[14:15], v[38:39], v[48:49]
	v_fma_f64 v[3:4], -v[16:17], v[38:39], v[42:43]
	;; [unrolled: 1-line block ×3, first 2 shown]
	v_add_f64 v[14:15], v[26:27], -v[22:23]
	v_add_f64 v[16:17], v[28:29], -v[24:25]
	;; [unrolled: 1-line block ×4, first 2 shown]
	v_fma_f64 v[9:10], -v[32:33], v[40:41], v[36:37]
	ds_store_b128 v13, v[14:17] offset:1024
	ds_store_b128 v13, v[1:4]
	ds_store_b128 v6, v[18:21]
	;; [unrolled: 1-line block ×3, first 2 shown]
	s_waitcnt vmcnt(0) lgkmcnt(0)
	s_waitcnt_vscnt null, 0x0
	; wave barrier
	s_waitcnt lgkmcnt(0)
	buffer_gl0_inv
	v_cmpx_gt_u32_e32 8, v0
	s_cbranch_execz .LBB74_14
; %bb.9:
	v_or_b32_e32 v7, 8, v0
	v_or_b32_e32 v8, 0x400, v13
	s_mov_b32 s1, exec_lo
                                        ; implicit-def: $vgpr3_vgpr4
	s_delay_alu instid0(VALU_DEP_2)
	v_cmpx_le_i32_e64 s3, v7
	s_xor_b32 s1, exec_lo, s1
	s_cbranch_execz .LBB74_11
; %bb.10:
	ds_load_b128 v[1:4], v6
	ds_load_b128 v[5:8], v8
	s_waitcnt lgkmcnt(1)
	v_mul_f64 v[9:10], v[3:4], v[3:4]
	s_delay_alu instid0(VALU_DEP_1) | instskip(NEXT) | instid1(VALU_DEP_1)
	v_fma_f64 v[9:10], v[1:2], v[1:2], v[9:10]
	v_div_scale_f64 v[14:15], null, v[9:10], v[9:10], 1.0
	v_div_scale_f64 v[20:21], vcc_lo, 1.0, v[9:10], 1.0
	s_delay_alu instid0(VALU_DEP_2) | instskip(SKIP_2) | instid1(VALU_DEP_1)
	v_rcp_f64_e32 v[16:17], v[14:15]
	s_waitcnt_depctr 0xfff
	v_fma_f64 v[18:19], -v[14:15], v[16:17], 1.0
	v_fma_f64 v[16:17], v[16:17], v[18:19], v[16:17]
	s_delay_alu instid0(VALU_DEP_1) | instskip(NEXT) | instid1(VALU_DEP_1)
	v_fma_f64 v[18:19], -v[14:15], v[16:17], 1.0
	v_fma_f64 v[16:17], v[16:17], v[18:19], v[16:17]
	s_delay_alu instid0(VALU_DEP_1) | instskip(NEXT) | instid1(VALU_DEP_1)
	v_mul_f64 v[18:19], v[20:21], v[16:17]
	v_fma_f64 v[14:15], -v[14:15], v[18:19], v[20:21]
	s_waitcnt lgkmcnt(0)
	v_mul_f64 v[20:21], v[3:4], v[7:8]
	v_mul_f64 v[3:4], v[3:4], -v[5:6]
	s_delay_alu instid0(VALU_DEP_3) | instskip(NEXT) | instid1(VALU_DEP_3)
	v_div_fmas_f64 v[14:15], v[14:15], v[16:17], v[18:19]
	v_fma_f64 v[5:6], v[5:6], v[1:2], v[20:21]
	s_delay_alu instid0(VALU_DEP_3) | instskip(NEXT) | instid1(VALU_DEP_3)
	v_fma_f64 v[3:4], v[7:8], v[1:2], v[3:4]
                                        ; implicit-def: $vgpr8
                                        ; implicit-def: $vgpr7
	v_div_fixup_f64 v[9:10], v[14:15], v[9:10], 1.0
	s_delay_alu instid0(VALU_DEP_1) | instskip(NEXT) | instid1(VALU_DEP_3)
	v_mul_f64 v[1:2], v[9:10], v[5:6]
	v_mul_f64 v[3:4], v[9:10], v[3:4]
                                        ; implicit-def: $vgpr6
                                        ; implicit-def: $vgpr5
.LBB74_11:
	s_and_not1_saveexec_b32 s1, s1
	s_cbranch_execz .LBB74_13
; %bb.12:
	ds_load_b128 v[0:3], v6
	ds_load_b128 v[14:17], v13 offset:128
	ds_load_b128 v[18:21], v6 offset:128
	ds_load_b128 v[22:25], v5
	s_waitcnt lgkmcnt(1)
	v_mul_f64 v[4:5], v[2:3], v[18:19]
	s_waitcnt lgkmcnt(0)
	v_mul_f64 v[9:10], v[16:17], v[22:23]
	v_mul_f64 v[26:27], v[2:3], -v[20:21]
	v_mul_f64 v[28:29], v[16:17], -v[24:25]
	s_delay_alu instid0(VALU_DEP_4) | instskip(NEXT) | instid1(VALU_DEP_4)
	v_fma_f64 v[4:5], v[20:21], v[0:1], v[4:5]
	v_fma_f64 v[9:10], v[24:25], v[14:15], v[9:10]
	s_delay_alu instid0(VALU_DEP_4) | instskip(NEXT) | instid1(VALU_DEP_4)
	v_fma_f64 v[26:27], v[18:19], v[0:1], v[26:27]
	v_fma_f64 v[28:29], v[22:23], v[14:15], v[28:29]
	s_delay_alu instid0(VALU_DEP_3) | instskip(NEXT) | instid1(VALU_DEP_2)
	v_add_f64 v[4:5], v[4:5], -v[9:10]
	v_add_f64 v[9:10], v[26:27], -v[28:29]
	s_delay_alu instid0(VALU_DEP_2) | instskip(NEXT) | instid1(VALU_DEP_1)
	v_mul_f64 v[26:27], v[4:5], v[4:5]
	v_fma_f64 v[34:35], v[9:10], v[9:10], v[26:27]
	s_delay_alu instid0(VALU_DEP_1) | instskip(SKIP_1) | instid1(VALU_DEP_2)
	v_div_scale_f64 v[26:27], null, v[34:35], v[34:35], 1.0
	v_div_scale_f64 v[32:33], vcc_lo, 1.0, v[34:35], 1.0
	v_rcp_f64_e32 v[28:29], v[26:27]
	s_waitcnt_depctr 0xfff
	v_fma_f64 v[30:31], -v[26:27], v[28:29], 1.0
	s_delay_alu instid0(VALU_DEP_1) | instskip(NEXT) | instid1(VALU_DEP_1)
	v_fma_f64 v[28:29], v[28:29], v[30:31], v[28:29]
	v_fma_f64 v[30:31], -v[26:27], v[28:29], 1.0
	s_delay_alu instid0(VALU_DEP_1) | instskip(NEXT) | instid1(VALU_DEP_1)
	v_fma_f64 v[36:37], v[28:29], v[30:31], v[28:29]
	v_mul_f64 v[38:39], v[32:33], v[36:37]
	s_delay_alu instid0(VALU_DEP_1)
	v_fma_f64 v[40:41], -v[26:27], v[38:39], v[32:33]
	ds_load_b128 v[26:29], v8
	ds_load_b128 v[30:33], v8 offset:128
	s_waitcnt lgkmcnt(1)
	v_mul_f64 v[42:43], v[28:29], -v[20:21]
	v_mul_f64 v[44:45], v[18:19], v[28:29]
	s_waitcnt lgkmcnt(0)
	v_mul_f64 v[46:47], v[32:33], -v[24:25]
	v_mul_f64 v[48:49], v[22:23], v[32:33]
	v_mul_f64 v[50:51], v[2:3], -v[32:33]
	v_mul_f64 v[2:3], v[2:3], v[30:31]
	v_div_fmas_f64 v[36:37], v[40:41], v[36:37], v[38:39]
	v_mul_f64 v[38:39], v[16:17], v[26:27]
	v_mul_f64 v[16:17], v[16:17], -v[28:29]
	v_fma_f64 v[40:41], v[9:10], 0, -v[4:5]
	v_fma_f64 v[4:5], v[4:5], 0, v[9:10]
	v_fma_f64 v[18:19], v[18:19], v[26:27], v[42:43]
	;; [unrolled: 1-line block ×7, first 2 shown]
	v_div_fixup_f64 v[34:35], v[36:37], v[34:35], 1.0
	v_fma_f64 v[2:3], v[28:29], v[14:15], v[38:39]
	v_fma_f64 v[14:15], v[26:27], v[14:15], v[16:17]
	v_add_f64 v[18:19], v[18:19], -v[22:23]
	v_add_f64 v[16:17], v[20:21], -v[24:25]
	v_mul_f64 v[8:9], v[40:41], v[34:35]
	v_add_f64 v[20:21], v[0:1], -v[2:3]
	v_add_f64 v[0:1], v[30:31], -v[14:15]
	v_mul_f64 v[3:4], v[4:5], v[34:35]
	s_delay_alu instid0(VALU_DEP_4) | instskip(SKIP_3) | instid1(VALU_DEP_4)
	v_mul_f64 v[5:6], v[8:9], -v[16:17]
	v_mul_f64 v[22:23], v[8:9], v[18:19]
	v_mul_f64 v[24:25], v[8:9], -v[20:21]
	v_mul_f64 v[8:9], v[8:9], v[0:1]
	v_fma_f64 v[14:15], v[18:19], v[3:4], v[5:6]
	s_delay_alu instid0(VALU_DEP_4) | instskip(NEXT) | instid1(VALU_DEP_4)
	v_fma_f64 v[16:17], v[16:17], v[3:4], v[22:23]
	v_fma_f64 v[1:2], v[0:1], v[3:4], v[24:25]
	s_delay_alu instid0(VALU_DEP_4)
	v_fma_f64 v[3:4], v[20:21], v[3:4], v[8:9]
	v_mov_b32_e32 v0, v7
	ds_store_b128 v13, v[14:17] offset:768
.LBB74_13:
	s_or_b32 exec_lo, exec_lo, s1
	v_lshlrev_b32_e32 v0, 4, v0
	ds_store_b128 v0, v[1:4] offset:768
.LBB74_14:
	s_or_b32 exec_lo, exec_lo, s0
	s_waitcnt vmcnt(0) lgkmcnt(0)
	s_waitcnt_vscnt null, 0x0
	; wave barrier
	s_waitcnt lgkmcnt(0)
	buffer_gl0_inv
	s_and_saveexec_b32 s0, s2
	s_cbranch_execz .LBB74_16
; %bb.15:
	ds_load_2addr_b64 v[0:3], v13 offset0:96 offset1:97
	v_lshlrev_b64 v[4:5], 4, v[11:12]
	s_delay_alu instid0(VALU_DEP_1) | instskip(NEXT) | instid1(VALU_DEP_2)
	v_add_co_u32 v4, vcc_lo, s4, v4
	v_add_co_ci_u32_e32 v5, vcc_lo, s5, v5, vcc_lo
	s_waitcnt lgkmcnt(0)
	global_store_b128 v[4:5], v[0:3], off
.LBB74_16:
	s_nop 0
	s_sendmsg sendmsg(MSG_DEALLOC_VGPRS)
	s_endpgm
	.section	.rodata,"a",@progbits
	.p2align	6, 0x0
	.amdhsa_kernel _ZN9rocsparseL44gtsv_nopivot_strided_batch_pcr_shared_kernelILj16E21rocsparse_complex_numIdEEEviiiPKT0_S5_S5_PS3_
		.amdhsa_group_segment_fixed_size 1280
		.amdhsa_private_segment_fixed_size 0
		.amdhsa_kernarg_size 48
		.amdhsa_user_sgpr_count 15
		.amdhsa_user_sgpr_dispatch_ptr 0
		.amdhsa_user_sgpr_queue_ptr 0
		.amdhsa_user_sgpr_kernarg_segment_ptr 1
		.amdhsa_user_sgpr_dispatch_id 0
		.amdhsa_user_sgpr_private_segment_size 0
		.amdhsa_wavefront_size32 1
		.amdhsa_uses_dynamic_stack 0
		.amdhsa_enable_private_segment 0
		.amdhsa_system_sgpr_workgroup_id_x 1
		.amdhsa_system_sgpr_workgroup_id_y 0
		.amdhsa_system_sgpr_workgroup_id_z 0
		.amdhsa_system_sgpr_workgroup_info 0
		.amdhsa_system_vgpr_workitem_id 0
		.amdhsa_next_free_vgpr 62
		.amdhsa_next_free_sgpr 16
		.amdhsa_reserve_vcc 1
		.amdhsa_float_round_mode_32 0
		.amdhsa_float_round_mode_16_64 0
		.amdhsa_float_denorm_mode_32 3
		.amdhsa_float_denorm_mode_16_64 3
		.amdhsa_dx10_clamp 1
		.amdhsa_ieee_mode 1
		.amdhsa_fp16_overflow 0
		.amdhsa_workgroup_processor_mode 1
		.amdhsa_memory_ordered 1
		.amdhsa_forward_progress 0
		.amdhsa_shared_vgpr_count 0
		.amdhsa_exception_fp_ieee_invalid_op 0
		.amdhsa_exception_fp_denorm_src 0
		.amdhsa_exception_fp_ieee_div_zero 0
		.amdhsa_exception_fp_ieee_overflow 0
		.amdhsa_exception_fp_ieee_underflow 0
		.amdhsa_exception_fp_ieee_inexact 0
		.amdhsa_exception_int_div_zero 0
	.end_amdhsa_kernel
	.section	.text._ZN9rocsparseL44gtsv_nopivot_strided_batch_pcr_shared_kernelILj16E21rocsparse_complex_numIdEEEviiiPKT0_S5_S5_PS3_,"axG",@progbits,_ZN9rocsparseL44gtsv_nopivot_strided_batch_pcr_shared_kernelILj16E21rocsparse_complex_numIdEEEviiiPKT0_S5_S5_PS3_,comdat
.Lfunc_end74:
	.size	_ZN9rocsparseL44gtsv_nopivot_strided_batch_pcr_shared_kernelILj16E21rocsparse_complex_numIdEEEviiiPKT0_S5_S5_PS3_, .Lfunc_end74-_ZN9rocsparseL44gtsv_nopivot_strided_batch_pcr_shared_kernelILj16E21rocsparse_complex_numIdEEEviiiPKT0_S5_S5_PS3_
                                        ; -- End function
	.section	.AMDGPU.csdata,"",@progbits
; Kernel info:
; codeLenInByte = 3796
; NumSgprs: 18
; NumVgprs: 62
; ScratchSize: 0
; MemoryBound: 1
; FloatMode: 240
; IeeeMode: 1
; LDSByteSize: 1280 bytes/workgroup (compile time only)
; SGPRBlocks: 2
; VGPRBlocks: 7
; NumSGPRsForWavesPerEU: 18
; NumVGPRsForWavesPerEU: 62
; Occupancy: 16
; WaveLimiterHint : 0
; COMPUTE_PGM_RSRC2:SCRATCH_EN: 0
; COMPUTE_PGM_RSRC2:USER_SGPR: 15
; COMPUTE_PGM_RSRC2:TRAP_HANDLER: 0
; COMPUTE_PGM_RSRC2:TGID_X_EN: 1
; COMPUTE_PGM_RSRC2:TGID_Y_EN: 0
; COMPUTE_PGM_RSRC2:TGID_Z_EN: 0
; COMPUTE_PGM_RSRC2:TIDIG_COMP_CNT: 0
	.section	.text._ZN9rocsparseL44gtsv_nopivot_strided_batch_pcr_shared_kernelILj32E21rocsparse_complex_numIdEEEviiiPKT0_S5_S5_PS3_,"axG",@progbits,_ZN9rocsparseL44gtsv_nopivot_strided_batch_pcr_shared_kernelILj32E21rocsparse_complex_numIdEEEviiiPKT0_S5_S5_PS3_,comdat
	.globl	_ZN9rocsparseL44gtsv_nopivot_strided_batch_pcr_shared_kernelILj32E21rocsparse_complex_numIdEEEviiiPKT0_S5_S5_PS3_ ; -- Begin function _ZN9rocsparseL44gtsv_nopivot_strided_batch_pcr_shared_kernelILj32E21rocsparse_complex_numIdEEEviiiPKT0_S5_S5_PS3_
	.p2align	8
	.type	_ZN9rocsparseL44gtsv_nopivot_strided_batch_pcr_shared_kernelILj32E21rocsparse_complex_numIdEEEviiiPKT0_S5_S5_PS3_,@function
_ZN9rocsparseL44gtsv_nopivot_strided_batch_pcr_shared_kernelILj32E21rocsparse_complex_numIdEEEviiiPKT0_S5_S5_PS3_: ; @_ZN9rocsparseL44gtsv_nopivot_strided_batch_pcr_shared_kernelILj32E21rocsparse_complex_numIdEEEviiiPKT0_S5_S5_PS3_
; %bb.0:
	s_clause 0x1
	s_load_b32 s2, s[0:1], 0x8
	s_load_b32 s3, s[0:1], 0x0
	v_mov_b32_e32 v3, 0
	v_mov_b32_e32 v4, 0
	s_delay_alu instid0(VALU_DEP_1) | instskip(SKIP_4) | instid1(VALU_DEP_2)
	v_dual_mov_b32 v8, v4 :: v_dual_mov_b32 v7, v3
	v_dual_mov_b32 v10, v4 :: v_dual_mov_b32 v9, v3
	s_waitcnt lgkmcnt(0)
	v_mad_u64_u32 v[11:12], null, s15, s2, v[0:1]
	v_cmp_gt_i32_e64 s2, s3, v0
	v_ashrrev_i32_e32 v12, 31, v11
	s_delay_alu instid0(VALU_DEP_2)
	s_and_saveexec_b32 s4, s2
	s_cbranch_execz .LBB75_2
; %bb.1:
	s_load_b64 s[6:7], s[0:1], 0x10
	s_delay_alu instid0(VALU_DEP_1) | instskip(SKIP_1) | instid1(VALU_DEP_1)
	v_lshlrev_b64 v[1:2], 4, v[11:12]
	s_waitcnt lgkmcnt(0)
	v_add_co_u32 v1, vcc_lo, s6, v1
	s_delay_alu instid0(VALU_DEP_2)
	v_add_co_ci_u32_e32 v2, vcc_lo, s7, v2, vcc_lo
	global_load_b128 v[7:10], v[1:2], off
.LBB75_2:
	s_or_b32 exec_lo, exec_lo, s4
	v_dual_mov_b32 v6, v4 :: v_dual_lshlrev_b32 v13, 4, v0
	v_mov_b32_e32 v5, v3
	s_waitcnt vmcnt(0)
	ds_store_b128 v13, v[7:10]
	s_and_saveexec_b32 s4, s2
	s_cbranch_execz .LBB75_4
; %bb.3:
	s_load_b64 s[6:7], s[0:1], 0x18
	v_lshlrev_b64 v[1:2], 4, v[11:12]
	s_waitcnt lgkmcnt(0)
	s_delay_alu instid0(VALU_DEP_1) | instskip(NEXT) | instid1(VALU_DEP_2)
	v_add_co_u32 v1, vcc_lo, s6, v1
	v_add_co_ci_u32_e32 v2, vcc_lo, s7, v2, vcc_lo
	global_load_b128 v[3:6], v[1:2], off
.LBB75_4:
	s_or_b32 exec_lo, exec_lo, s4
	s_load_b64 s[4:5], s[0:1], 0x28
	v_mov_b32_e32 v1, 0
	v_mov_b32_e32 v2, 0
	s_waitcnt vmcnt(0)
	ds_store_b128 v13, v[3:6] offset:512
	v_dual_mov_b32 v8, v2 :: v_dual_mov_b32 v7, v1
	v_dual_mov_b32 v10, v2 :: v_dual_mov_b32 v9, v1
	s_and_saveexec_b32 s6, s2
	s_cbranch_execz .LBB75_6
; %bb.5:
	s_load_b64 s[0:1], s[0:1], 0x20
	v_lshlrev_b64 v[3:4], 4, v[11:12]
	s_waitcnt lgkmcnt(0)
	s_delay_alu instid0(VALU_DEP_1) | instskip(NEXT) | instid1(VALU_DEP_2)
	v_add_co_u32 v3, vcc_lo, s0, v3
	v_add_co_ci_u32_e32 v4, vcc_lo, s1, v4, vcc_lo
	global_load_b128 v[7:10], v[3:4], off
.LBB75_6:
	s_or_b32 exec_lo, exec_lo, s6
	v_or_b32_e32 v6, 0x200, v13
	v_or_b32_e32 v5, 0x400, v13
	v_dual_mov_b32 v4, v2 :: v_dual_mov_b32 v3, v1
	s_waitcnt vmcnt(0)
	ds_store_b128 v13, v[7:10] offset:1024
	s_and_saveexec_b32 s0, s2
	s_cbranch_execz .LBB75_8
; %bb.7:
	v_lshlrev_b64 v[1:2], 4, v[11:12]
	s_waitcnt lgkmcnt(0)
	s_delay_alu instid0(VALU_DEP_1) | instskip(NEXT) | instid1(VALU_DEP_2)
	v_add_co_u32 v1, vcc_lo, s4, v1
	v_add_co_ci_u32_e32 v2, vcc_lo, s5, v2, vcc_lo
	global_load_b128 v[1:4], v[1:2], off
.LBB75_8:
	s_or_b32 exec_lo, exec_lo, s0
	v_max_u32_e32 v7, 1, v0
	s_waitcnt vmcnt(0)
	ds_store_b128 v13, v[1:4] offset:2048
	s_waitcnt vmcnt(0) lgkmcnt(0)
	s_waitcnt_vscnt null, 0x0
	; wave barrier
	s_waitcnt lgkmcnt(0)
	buffer_gl0_inv
	v_add_nc_u32_e32 v14, 1, v0
	v_lshlrev_b32_e32 v54, 4, v7
	s_add_i32 s1, s3, -1
	s_delay_alu instid0(VALU_DEP_2) | instskip(SKIP_3) | instid1(VALU_DEP_1)
	v_cmp_gt_i32_e32 vcc_lo, s3, v14
	ds_load_b128 v[1:4], v54 offset:496
	ds_load_b128 v[7:10], v54 offset:1008
	v_cndmask_b32_e32 v14, s1, v14, vcc_lo
	v_lshlrev_b32_e32 v56, 4, v14
	ds_load_b128 v[14:17], v56 offset:512
	ds_load_b128 v[18:21], v56
	s_waitcnt lgkmcnt(3)
	v_mul_f64 v[22:23], v[3:4], v[3:4]
	s_waitcnt lgkmcnt(1)
	v_mul_f64 v[24:25], v[16:17], v[16:17]
	s_delay_alu instid0(VALU_DEP_2) | instskip(NEXT) | instid1(VALU_DEP_2)
	v_fma_f64 v[38:39], v[1:2], v[1:2], v[22:23]
	v_fma_f64 v[40:41], v[14:15], v[14:15], v[24:25]
	s_delay_alu instid0(VALU_DEP_2) | instskip(SKIP_1) | instid1(VALU_DEP_3)
	v_div_scale_f64 v[22:23], null, v[38:39], v[38:39], 1.0
	v_div_scale_f64 v[34:35], vcc_lo, 1.0, v[38:39], 1.0
	v_div_scale_f64 v[30:31], null, v[40:41], v[40:41], 1.0
	v_div_scale_f64 v[42:43], s0, 1.0, v[40:41], 1.0
	s_delay_alu instid0(VALU_DEP_4) | instskip(NEXT) | instid1(VALU_DEP_2)
	v_rcp_f64_e32 v[24:25], v[22:23]
	v_rcp_f64_e32 v[26:27], v[30:31]
	s_waitcnt_depctr 0xfff
	v_fma_f64 v[28:29], -v[22:23], v[24:25], 1.0
	v_fma_f64 v[32:33], -v[30:31], v[26:27], 1.0
	s_delay_alu instid0(VALU_DEP_2) | instskip(NEXT) | instid1(VALU_DEP_2)
	v_fma_f64 v[24:25], v[24:25], v[28:29], v[24:25]
	v_fma_f64 v[26:27], v[26:27], v[32:33], v[26:27]
	s_delay_alu instid0(VALU_DEP_2) | instskip(NEXT) | instid1(VALU_DEP_2)
	v_fma_f64 v[28:29], -v[22:23], v[24:25], 1.0
	v_fma_f64 v[32:33], -v[30:31], v[26:27], 1.0
	s_delay_alu instid0(VALU_DEP_2) | instskip(NEXT) | instid1(VALU_DEP_2)
	v_fma_f64 v[36:37], v[24:25], v[28:29], v[24:25]
	v_fma_f64 v[44:45], v[26:27], v[32:33], v[26:27]
	s_delay_alu instid0(VALU_DEP_2) | instskip(NEXT) | instid1(VALU_DEP_2)
	v_mul_f64 v[32:33], v[34:35], v[36:37]
	v_mul_f64 v[46:47], v[42:43], v[44:45]
	s_delay_alu instid0(VALU_DEP_2)
	v_fma_f64 v[34:35], -v[22:23], v[32:33], v[34:35]
	ds_load_b128 v[22:25], v13
	ds_load_b128 v[26:29], v13 offset:2048
	v_fma_f64 v[42:43], -v[30:31], v[46:47], v[42:43]
	s_waitcnt lgkmcnt(1)
	v_mul_f64 v[48:49], v[3:4], -v[22:23]
	v_mul_f64 v[3:4], v[3:4], v[24:25]
	v_div_fmas_f64 v[50:51], v[34:35], v[36:37], v[32:33]
	ds_load_b128 v[30:33], v5
	ds_load_b128 v[34:37], v6
	s_mov_b32 vcc_lo, s0
	v_div_fmas_f64 v[42:43], v[42:43], v[44:45], v[46:47]
	s_waitcnt lgkmcnt(1)
	v_mul_f64 v[52:53], v[16:17], -v[30:31]
	v_fma_f64 v[24:25], v[24:25], v[1:2], v[48:49]
	v_mul_f64 v[16:17], v[16:17], v[32:33]
	v_fma_f64 v[22:23], v[22:23], v[1:2], v[3:4]
	ds_load_b128 v[1:4], v54 offset:2032
	v_div_fixup_f64 v[38:39], v[50:51], v[38:39], 1.0
	v_div_fixup_f64 v[40:41], v[42:43], v[40:41], 1.0
	v_fma_f64 v[32:33], v[32:33], v[14:15], v[52:53]
	v_fma_f64 v[44:45], v[30:31], v[14:15], v[16:17]
	s_delay_alu instid0(VALU_DEP_4)
	v_mul_f64 v[42:43], v[38:39], v[24:25]
	v_add_nc_u32_e32 v24, -16, v54
	v_mul_f64 v[38:39], v[38:39], v[22:23]
	ds_load_b128 v[14:17], v24
	v_mul_f64 v[46:47], v[40:41], v[32:33]
	ds_load_b128 v[22:25], v56 offset:2048
	ds_load_b128 v[30:33], v56 offset:1024
	v_mul_f64 v[40:41], v[40:41], v[44:45]
	s_waitcnt vmcnt(0) lgkmcnt(0)
	s_waitcnt_vscnt null, 0x0
	; wave barrier
	s_waitcnt lgkmcnt(0)
	buffer_gl0_inv
	v_mul_f64 v[48:49], v[42:43], -v[3:4]
	v_mul_f64 v[50:51], v[42:43], v[1:2]
	v_mul_f64 v[52:53], v[42:43], -v[9:10]
	v_mul_f64 v[54:55], v[42:43], v[7:8]
	;; [unrolled: 2-line block ×4, first 2 shown]
	v_fma_f64 v[1:2], v[1:2], v[38:39], v[48:49]
	v_fma_f64 v[3:4], v[3:4], v[38:39], v[50:51]
	;; [unrolled: 1-line block ×4, first 2 shown]
	v_mul_f64 v[48:49], v[42:43], v[16:17]
	v_mul_f64 v[42:43], v[42:43], -v[14:15]
	v_mul_f64 v[50:51], v[46:47], v[32:33]
	v_fma_f64 v[22:23], v[22:23], v[40:41], v[58:59]
	v_fma_f64 v[24:25], v[24:25], v[40:41], v[60:61]
	;; [unrolled: 1-line block ×4, first 2 shown]
	v_add_f64 v[26:27], v[26:27], -v[1:2]
	v_add_f64 v[28:29], v[28:29], -v[3:4]
	;; [unrolled: 1-line block ×4, first 2 shown]
	v_mul_f64 v[36:37], v[46:47], -v[30:31]
	v_fma_f64 v[1:2], -v[14:15], v[38:39], v[48:49]
	v_fma_f64 v[3:4], -v[16:17], v[38:39], v[42:43]
	;; [unrolled: 1-line block ×3, first 2 shown]
	v_add_f64 v[14:15], v[26:27], -v[22:23]
	v_add_f64 v[16:17], v[28:29], -v[24:25]
	v_add_f64 v[18:19], v[34:35], -v[18:19]
	v_add_f64 v[20:21], v[9:10], -v[20:21]
	v_fma_f64 v[9:10], -v[32:33], v[40:41], v[36:37]
	v_max_u32_e32 v22, 2, v0
	ds_store_b128 v13, v[14:17] offset:2048
	ds_store_b128 v13, v[1:4]
	ds_store_b128 v6, v[18:21]
	;; [unrolled: 1-line block ×3, first 2 shown]
	v_lshlrev_b32_e32 v54, 4, v22
	s_waitcnt vmcnt(0) lgkmcnt(0)
	s_waitcnt_vscnt null, 0x0
	; wave barrier
	s_waitcnt lgkmcnt(0)
	buffer_gl0_inv
	v_add_nc_u32_e32 v14, 2, v0
	ds_load_b128 v[1:4], v54 offset:480
	ds_load_b128 v[7:10], v54 offset:992
	v_cmp_gt_i32_e32 vcc_lo, s3, v14
	v_cndmask_b32_e32 v14, s1, v14, vcc_lo
	s_delay_alu instid0(VALU_DEP_1)
	v_lshlrev_b32_e32 v56, 4, v14
	ds_load_b128 v[14:17], v56 offset:512
	ds_load_b128 v[18:21], v56
	s_waitcnt lgkmcnt(3)
	v_mul_f64 v[22:23], v[3:4], v[3:4]
	s_waitcnt lgkmcnt(1)
	v_mul_f64 v[24:25], v[16:17], v[16:17]
	s_delay_alu instid0(VALU_DEP_2) | instskip(NEXT) | instid1(VALU_DEP_2)
	v_fma_f64 v[38:39], v[1:2], v[1:2], v[22:23]
	v_fma_f64 v[40:41], v[14:15], v[14:15], v[24:25]
	s_delay_alu instid0(VALU_DEP_2) | instskip(SKIP_1) | instid1(VALU_DEP_3)
	v_div_scale_f64 v[22:23], null, v[38:39], v[38:39], 1.0
	v_div_scale_f64 v[34:35], vcc_lo, 1.0, v[38:39], 1.0
	v_div_scale_f64 v[30:31], null, v[40:41], v[40:41], 1.0
	v_div_scale_f64 v[42:43], s0, 1.0, v[40:41], 1.0
	s_delay_alu instid0(VALU_DEP_4) | instskip(NEXT) | instid1(VALU_DEP_2)
	v_rcp_f64_e32 v[24:25], v[22:23]
	v_rcp_f64_e32 v[26:27], v[30:31]
	s_waitcnt_depctr 0xfff
	v_fma_f64 v[28:29], -v[22:23], v[24:25], 1.0
	v_fma_f64 v[32:33], -v[30:31], v[26:27], 1.0
	s_delay_alu instid0(VALU_DEP_2) | instskip(NEXT) | instid1(VALU_DEP_2)
	v_fma_f64 v[24:25], v[24:25], v[28:29], v[24:25]
	v_fma_f64 v[26:27], v[26:27], v[32:33], v[26:27]
	s_delay_alu instid0(VALU_DEP_2) | instskip(NEXT) | instid1(VALU_DEP_2)
	v_fma_f64 v[28:29], -v[22:23], v[24:25], 1.0
	v_fma_f64 v[32:33], -v[30:31], v[26:27], 1.0
	s_delay_alu instid0(VALU_DEP_2) | instskip(NEXT) | instid1(VALU_DEP_2)
	v_fma_f64 v[36:37], v[24:25], v[28:29], v[24:25]
	v_fma_f64 v[44:45], v[26:27], v[32:33], v[26:27]
	s_delay_alu instid0(VALU_DEP_2) | instskip(NEXT) | instid1(VALU_DEP_2)
	v_mul_f64 v[32:33], v[34:35], v[36:37]
	v_mul_f64 v[46:47], v[42:43], v[44:45]
	s_delay_alu instid0(VALU_DEP_2)
	v_fma_f64 v[34:35], -v[22:23], v[32:33], v[34:35]
	ds_load_b128 v[22:25], v13
	ds_load_b128 v[26:29], v13 offset:2048
	v_fma_f64 v[42:43], -v[30:31], v[46:47], v[42:43]
	s_waitcnt lgkmcnt(1)
	v_mul_f64 v[48:49], v[3:4], -v[22:23]
	v_mul_f64 v[3:4], v[3:4], v[24:25]
	v_div_fmas_f64 v[50:51], v[34:35], v[36:37], v[32:33]
	ds_load_b128 v[30:33], v5
	ds_load_b128 v[34:37], v6
	s_mov_b32 vcc_lo, s0
	v_div_fmas_f64 v[42:43], v[42:43], v[44:45], v[46:47]
	s_waitcnt lgkmcnt(1)
	v_mul_f64 v[52:53], v[16:17], -v[30:31]
	v_fma_f64 v[24:25], v[24:25], v[1:2], v[48:49]
	v_mul_f64 v[16:17], v[16:17], v[32:33]
	v_fma_f64 v[22:23], v[22:23], v[1:2], v[3:4]
	ds_load_b128 v[1:4], v54 offset:2016
	v_div_fixup_f64 v[38:39], v[50:51], v[38:39], 1.0
	v_div_fixup_f64 v[40:41], v[42:43], v[40:41], 1.0
	v_fma_f64 v[32:33], v[32:33], v[14:15], v[52:53]
	v_fma_f64 v[44:45], v[30:31], v[14:15], v[16:17]
	s_delay_alu instid0(VALU_DEP_4)
	v_mul_f64 v[42:43], v[38:39], v[24:25]
	v_subrev_nc_u32_e32 v24, 32, v54
	v_mul_f64 v[38:39], v[38:39], v[22:23]
	ds_load_b128 v[14:17], v24
	v_mul_f64 v[46:47], v[40:41], v[32:33]
	ds_load_b128 v[22:25], v56 offset:2048
	ds_load_b128 v[30:33], v56 offset:1024
	v_mul_f64 v[40:41], v[40:41], v[44:45]
	s_waitcnt vmcnt(0) lgkmcnt(0)
	s_waitcnt_vscnt null, 0x0
	; wave barrier
	s_waitcnt lgkmcnt(0)
	buffer_gl0_inv
	v_mul_f64 v[48:49], v[42:43], -v[3:4]
	v_mul_f64 v[50:51], v[42:43], v[1:2]
	v_mul_f64 v[52:53], v[42:43], -v[9:10]
	v_mul_f64 v[54:55], v[42:43], v[7:8]
	;; [unrolled: 2-line block ×4, first 2 shown]
	v_fma_f64 v[1:2], v[1:2], v[38:39], v[48:49]
	v_fma_f64 v[3:4], v[3:4], v[38:39], v[50:51]
	;; [unrolled: 1-line block ×4, first 2 shown]
	v_mul_f64 v[48:49], v[42:43], v[16:17]
	v_mul_f64 v[42:43], v[42:43], -v[14:15]
	v_mul_f64 v[50:51], v[46:47], v[32:33]
	v_fma_f64 v[22:23], v[22:23], v[40:41], v[58:59]
	v_fma_f64 v[24:25], v[24:25], v[40:41], v[60:61]
	;; [unrolled: 1-line block ×4, first 2 shown]
	v_add_f64 v[26:27], v[26:27], -v[1:2]
	v_add_f64 v[28:29], v[28:29], -v[3:4]
	;; [unrolled: 1-line block ×4, first 2 shown]
	v_mul_f64 v[36:37], v[46:47], -v[30:31]
	v_fma_f64 v[1:2], -v[14:15], v[38:39], v[48:49]
	v_fma_f64 v[3:4], -v[16:17], v[38:39], v[42:43]
	;; [unrolled: 1-line block ×3, first 2 shown]
	v_add_f64 v[14:15], v[26:27], -v[22:23]
	v_add_f64 v[16:17], v[28:29], -v[24:25]
	;; [unrolled: 1-line block ×4, first 2 shown]
	v_fma_f64 v[9:10], -v[32:33], v[40:41], v[36:37]
	v_max_u32_e32 v22, 4, v0
	ds_store_b128 v13, v[14:17] offset:2048
	ds_store_b128 v13, v[1:4]
	ds_store_b128 v6, v[18:21]
	;; [unrolled: 1-line block ×3, first 2 shown]
	v_lshlrev_b32_e32 v54, 4, v22
	s_waitcnt vmcnt(0) lgkmcnt(0)
	s_waitcnt_vscnt null, 0x0
	; wave barrier
	s_waitcnt lgkmcnt(0)
	buffer_gl0_inv
	v_add_nc_u32_e32 v14, 4, v0
	ds_load_b128 v[1:4], v54 offset:448
	ds_load_b128 v[7:10], v54 offset:960
	v_cmp_gt_i32_e32 vcc_lo, s3, v14
	v_cndmask_b32_e32 v14, s1, v14, vcc_lo
	s_delay_alu instid0(VALU_DEP_1)
	v_lshlrev_b32_e32 v56, 4, v14
	ds_load_b128 v[14:17], v56 offset:512
	ds_load_b128 v[18:21], v56
	s_waitcnt lgkmcnt(3)
	v_mul_f64 v[22:23], v[3:4], v[3:4]
	s_waitcnt lgkmcnt(1)
	v_mul_f64 v[24:25], v[16:17], v[16:17]
	s_delay_alu instid0(VALU_DEP_2) | instskip(NEXT) | instid1(VALU_DEP_2)
	v_fma_f64 v[38:39], v[1:2], v[1:2], v[22:23]
	v_fma_f64 v[40:41], v[14:15], v[14:15], v[24:25]
	s_delay_alu instid0(VALU_DEP_2) | instskip(SKIP_1) | instid1(VALU_DEP_3)
	v_div_scale_f64 v[22:23], null, v[38:39], v[38:39], 1.0
	v_div_scale_f64 v[34:35], vcc_lo, 1.0, v[38:39], 1.0
	v_div_scale_f64 v[30:31], null, v[40:41], v[40:41], 1.0
	v_div_scale_f64 v[42:43], s0, 1.0, v[40:41], 1.0
	s_delay_alu instid0(VALU_DEP_4) | instskip(NEXT) | instid1(VALU_DEP_2)
	v_rcp_f64_e32 v[24:25], v[22:23]
	v_rcp_f64_e32 v[26:27], v[30:31]
	s_waitcnt_depctr 0xfff
	v_fma_f64 v[28:29], -v[22:23], v[24:25], 1.0
	v_fma_f64 v[32:33], -v[30:31], v[26:27], 1.0
	s_delay_alu instid0(VALU_DEP_2) | instskip(NEXT) | instid1(VALU_DEP_2)
	v_fma_f64 v[24:25], v[24:25], v[28:29], v[24:25]
	v_fma_f64 v[26:27], v[26:27], v[32:33], v[26:27]
	s_delay_alu instid0(VALU_DEP_2) | instskip(NEXT) | instid1(VALU_DEP_2)
	v_fma_f64 v[28:29], -v[22:23], v[24:25], 1.0
	v_fma_f64 v[32:33], -v[30:31], v[26:27], 1.0
	s_delay_alu instid0(VALU_DEP_2) | instskip(NEXT) | instid1(VALU_DEP_2)
	v_fma_f64 v[36:37], v[24:25], v[28:29], v[24:25]
	v_fma_f64 v[44:45], v[26:27], v[32:33], v[26:27]
	s_delay_alu instid0(VALU_DEP_2) | instskip(NEXT) | instid1(VALU_DEP_2)
	v_mul_f64 v[32:33], v[34:35], v[36:37]
	v_mul_f64 v[46:47], v[42:43], v[44:45]
	s_delay_alu instid0(VALU_DEP_2)
	v_fma_f64 v[34:35], -v[22:23], v[32:33], v[34:35]
	ds_load_b128 v[22:25], v13
	ds_load_b128 v[26:29], v13 offset:2048
	v_fma_f64 v[42:43], -v[30:31], v[46:47], v[42:43]
	s_waitcnt lgkmcnt(1)
	v_mul_f64 v[48:49], v[3:4], -v[22:23]
	v_mul_f64 v[3:4], v[3:4], v[24:25]
	v_div_fmas_f64 v[50:51], v[34:35], v[36:37], v[32:33]
	ds_load_b128 v[30:33], v5
	ds_load_b128 v[34:37], v6
	s_mov_b32 vcc_lo, s0
	v_div_fmas_f64 v[42:43], v[42:43], v[44:45], v[46:47]
	s_waitcnt lgkmcnt(1)
	v_mul_f64 v[52:53], v[16:17], -v[30:31]
	v_fma_f64 v[24:25], v[24:25], v[1:2], v[48:49]
	v_mul_f64 v[16:17], v[16:17], v[32:33]
	v_fma_f64 v[22:23], v[22:23], v[1:2], v[3:4]
	ds_load_b128 v[1:4], v54 offset:1984
	v_div_fixup_f64 v[38:39], v[50:51], v[38:39], 1.0
	v_div_fixup_f64 v[40:41], v[42:43], v[40:41], 1.0
	v_fma_f64 v[32:33], v[32:33], v[14:15], v[52:53]
	v_fma_f64 v[44:45], v[30:31], v[14:15], v[16:17]
	s_delay_alu instid0(VALU_DEP_4)
	v_mul_f64 v[42:43], v[38:39], v[24:25]
	v_subrev_nc_u32_e32 v24, 64, v54
	v_mul_f64 v[38:39], v[38:39], v[22:23]
	ds_load_b128 v[14:17], v24
	v_mul_f64 v[46:47], v[40:41], v[32:33]
	ds_load_b128 v[22:25], v56 offset:2048
	ds_load_b128 v[30:33], v56 offset:1024
	v_mul_f64 v[40:41], v[40:41], v[44:45]
	s_waitcnt vmcnt(0) lgkmcnt(0)
	s_waitcnt_vscnt null, 0x0
	; wave barrier
	s_waitcnt lgkmcnt(0)
	buffer_gl0_inv
	v_mul_f64 v[48:49], v[42:43], -v[3:4]
	v_mul_f64 v[50:51], v[42:43], v[1:2]
	v_mul_f64 v[52:53], v[42:43], -v[9:10]
	v_mul_f64 v[54:55], v[42:43], v[7:8]
	;; [unrolled: 2-line block ×4, first 2 shown]
	v_fma_f64 v[1:2], v[1:2], v[38:39], v[48:49]
	v_fma_f64 v[3:4], v[3:4], v[38:39], v[50:51]
	;; [unrolled: 1-line block ×4, first 2 shown]
	v_mul_f64 v[48:49], v[42:43], v[16:17]
	v_mul_f64 v[42:43], v[42:43], -v[14:15]
	v_mul_f64 v[50:51], v[46:47], v[32:33]
	v_fma_f64 v[22:23], v[22:23], v[40:41], v[58:59]
	v_fma_f64 v[24:25], v[24:25], v[40:41], v[60:61]
	;; [unrolled: 1-line block ×4, first 2 shown]
	v_add_f64 v[26:27], v[26:27], -v[1:2]
	v_add_f64 v[28:29], v[28:29], -v[3:4]
	;; [unrolled: 1-line block ×4, first 2 shown]
	v_mul_f64 v[36:37], v[46:47], -v[30:31]
	v_fma_f64 v[1:2], -v[14:15], v[38:39], v[48:49]
	v_fma_f64 v[3:4], -v[16:17], v[38:39], v[42:43]
	;; [unrolled: 1-line block ×3, first 2 shown]
	v_add_f64 v[14:15], v[26:27], -v[22:23]
	v_add_f64 v[16:17], v[28:29], -v[24:25]
	;; [unrolled: 1-line block ×4, first 2 shown]
	v_fma_f64 v[9:10], -v[32:33], v[40:41], v[36:37]
	v_max_u32_e32 v22, 8, v0
	ds_store_b128 v13, v[14:17] offset:2048
	ds_store_b128 v13, v[1:4]
	ds_store_b128 v6, v[18:21]
	;; [unrolled: 1-line block ×3, first 2 shown]
	v_lshlrev_b32_e32 v54, 4, v22
	s_waitcnt vmcnt(0) lgkmcnt(0)
	s_waitcnt_vscnt null, 0x0
	; wave barrier
	s_waitcnt lgkmcnt(0)
	buffer_gl0_inv
	v_add_nc_u32_e32 v14, 8, v0
	ds_load_b128 v[1:4], v54 offset:384
	ds_load_b128 v[7:10], v54 offset:896
	v_cmp_gt_i32_e32 vcc_lo, s3, v14
	v_cndmask_b32_e32 v14, s1, v14, vcc_lo
	s_delay_alu instid0(VALU_DEP_1)
	v_lshlrev_b32_e32 v56, 4, v14
	ds_load_b128 v[14:17], v56 offset:512
	ds_load_b128 v[18:21], v56
	s_waitcnt lgkmcnt(3)
	v_mul_f64 v[22:23], v[3:4], v[3:4]
	s_waitcnt lgkmcnt(1)
	v_mul_f64 v[24:25], v[16:17], v[16:17]
	s_delay_alu instid0(VALU_DEP_2) | instskip(NEXT) | instid1(VALU_DEP_2)
	v_fma_f64 v[38:39], v[1:2], v[1:2], v[22:23]
	v_fma_f64 v[40:41], v[14:15], v[14:15], v[24:25]
	s_delay_alu instid0(VALU_DEP_2) | instskip(SKIP_1) | instid1(VALU_DEP_3)
	v_div_scale_f64 v[22:23], null, v[38:39], v[38:39], 1.0
	v_div_scale_f64 v[34:35], vcc_lo, 1.0, v[38:39], 1.0
	v_div_scale_f64 v[30:31], null, v[40:41], v[40:41], 1.0
	v_div_scale_f64 v[42:43], s0, 1.0, v[40:41], 1.0
	s_delay_alu instid0(VALU_DEP_4) | instskip(NEXT) | instid1(VALU_DEP_2)
	v_rcp_f64_e32 v[24:25], v[22:23]
	v_rcp_f64_e32 v[26:27], v[30:31]
	s_waitcnt_depctr 0xfff
	v_fma_f64 v[28:29], -v[22:23], v[24:25], 1.0
	v_fma_f64 v[32:33], -v[30:31], v[26:27], 1.0
	s_delay_alu instid0(VALU_DEP_2) | instskip(NEXT) | instid1(VALU_DEP_2)
	v_fma_f64 v[24:25], v[24:25], v[28:29], v[24:25]
	v_fma_f64 v[26:27], v[26:27], v[32:33], v[26:27]
	s_delay_alu instid0(VALU_DEP_2) | instskip(NEXT) | instid1(VALU_DEP_2)
	v_fma_f64 v[28:29], -v[22:23], v[24:25], 1.0
	v_fma_f64 v[32:33], -v[30:31], v[26:27], 1.0
	s_delay_alu instid0(VALU_DEP_2) | instskip(NEXT) | instid1(VALU_DEP_2)
	v_fma_f64 v[36:37], v[24:25], v[28:29], v[24:25]
	v_fma_f64 v[44:45], v[26:27], v[32:33], v[26:27]
	s_delay_alu instid0(VALU_DEP_2) | instskip(NEXT) | instid1(VALU_DEP_2)
	v_mul_f64 v[32:33], v[34:35], v[36:37]
	v_mul_f64 v[46:47], v[42:43], v[44:45]
	s_delay_alu instid0(VALU_DEP_2)
	v_fma_f64 v[34:35], -v[22:23], v[32:33], v[34:35]
	ds_load_b128 v[22:25], v13
	ds_load_b128 v[26:29], v13 offset:2048
	v_fma_f64 v[42:43], -v[30:31], v[46:47], v[42:43]
	s_waitcnt lgkmcnt(1)
	v_mul_f64 v[48:49], v[3:4], -v[22:23]
	v_mul_f64 v[3:4], v[3:4], v[24:25]
	v_div_fmas_f64 v[50:51], v[34:35], v[36:37], v[32:33]
	ds_load_b128 v[30:33], v5
	ds_load_b128 v[34:37], v6
	s_mov_b32 vcc_lo, s0
	s_mov_b32 s0, exec_lo
	v_div_fmas_f64 v[42:43], v[42:43], v[44:45], v[46:47]
	s_waitcnt lgkmcnt(1)
	v_mul_f64 v[52:53], v[16:17], -v[30:31]
	v_fma_f64 v[24:25], v[24:25], v[1:2], v[48:49]
	v_mul_f64 v[16:17], v[16:17], v[32:33]
	v_fma_f64 v[22:23], v[22:23], v[1:2], v[3:4]
	ds_load_b128 v[1:4], v54 offset:1920
	v_div_fixup_f64 v[38:39], v[50:51], v[38:39], 1.0
	v_div_fixup_f64 v[40:41], v[42:43], v[40:41], 1.0
	v_fma_f64 v[32:33], v[32:33], v[14:15], v[52:53]
	v_fma_f64 v[44:45], v[30:31], v[14:15], v[16:17]
	s_delay_alu instid0(VALU_DEP_4)
	v_mul_f64 v[42:43], v[38:39], v[24:25]
	v_add_nc_u32_e32 v24, 0xffffff80, v54
	v_mul_f64 v[38:39], v[38:39], v[22:23]
	ds_load_b128 v[14:17], v24
	v_mul_f64 v[46:47], v[40:41], v[32:33]
	ds_load_b128 v[22:25], v56 offset:2048
	ds_load_b128 v[30:33], v56 offset:1024
	v_mul_f64 v[40:41], v[40:41], v[44:45]
	s_waitcnt vmcnt(0) lgkmcnt(0)
	s_waitcnt_vscnt null, 0x0
	; wave barrier
	s_waitcnt lgkmcnt(0)
	buffer_gl0_inv
	v_mul_f64 v[48:49], v[42:43], -v[3:4]
	v_mul_f64 v[50:51], v[42:43], v[1:2]
	v_mul_f64 v[52:53], v[42:43], -v[9:10]
	v_mul_f64 v[54:55], v[42:43], v[7:8]
	;; [unrolled: 2-line block ×4, first 2 shown]
	v_fma_f64 v[1:2], v[1:2], v[38:39], v[48:49]
	v_fma_f64 v[3:4], v[3:4], v[38:39], v[50:51]
	;; [unrolled: 1-line block ×4, first 2 shown]
	v_mul_f64 v[48:49], v[42:43], v[16:17]
	v_mul_f64 v[42:43], v[42:43], -v[14:15]
	v_mul_f64 v[50:51], v[46:47], v[32:33]
	v_fma_f64 v[22:23], v[22:23], v[40:41], v[58:59]
	v_fma_f64 v[24:25], v[24:25], v[40:41], v[60:61]
	;; [unrolled: 1-line block ×4, first 2 shown]
	v_add_f64 v[26:27], v[26:27], -v[1:2]
	v_add_f64 v[28:29], v[28:29], -v[3:4]
	;; [unrolled: 1-line block ×4, first 2 shown]
	v_mul_f64 v[36:37], v[46:47], -v[30:31]
	v_fma_f64 v[1:2], -v[14:15], v[38:39], v[48:49]
	v_fma_f64 v[3:4], -v[16:17], v[38:39], v[42:43]
	;; [unrolled: 1-line block ×3, first 2 shown]
	v_add_f64 v[14:15], v[26:27], -v[22:23]
	v_add_f64 v[16:17], v[28:29], -v[24:25]
	;; [unrolled: 1-line block ×4, first 2 shown]
	v_fma_f64 v[9:10], -v[32:33], v[40:41], v[36:37]
	ds_store_b128 v13, v[14:17] offset:2048
	ds_store_b128 v13, v[1:4]
	ds_store_b128 v6, v[18:21]
	;; [unrolled: 1-line block ×3, first 2 shown]
	s_waitcnt vmcnt(0) lgkmcnt(0)
	s_waitcnt_vscnt null, 0x0
	; wave barrier
	s_waitcnt lgkmcnt(0)
	buffer_gl0_inv
	v_cmpx_gt_u32_e32 16, v0
	s_cbranch_execz .LBB75_14
; %bb.9:
	v_or_b32_e32 v7, 16, v0
	v_or_b32_e32 v8, 0x800, v13
	s_mov_b32 s1, exec_lo
                                        ; implicit-def: $vgpr3_vgpr4
	s_delay_alu instid0(VALU_DEP_2)
	v_cmpx_le_i32_e64 s3, v7
	s_xor_b32 s1, exec_lo, s1
	s_cbranch_execz .LBB75_11
; %bb.10:
	ds_load_b128 v[1:4], v6
	ds_load_b128 v[5:8], v8
	s_waitcnt lgkmcnt(1)
	v_mul_f64 v[9:10], v[3:4], v[3:4]
	s_delay_alu instid0(VALU_DEP_1) | instskip(NEXT) | instid1(VALU_DEP_1)
	v_fma_f64 v[9:10], v[1:2], v[1:2], v[9:10]
	v_div_scale_f64 v[14:15], null, v[9:10], v[9:10], 1.0
	v_div_scale_f64 v[20:21], vcc_lo, 1.0, v[9:10], 1.0
	s_delay_alu instid0(VALU_DEP_2) | instskip(SKIP_2) | instid1(VALU_DEP_1)
	v_rcp_f64_e32 v[16:17], v[14:15]
	s_waitcnt_depctr 0xfff
	v_fma_f64 v[18:19], -v[14:15], v[16:17], 1.0
	v_fma_f64 v[16:17], v[16:17], v[18:19], v[16:17]
	s_delay_alu instid0(VALU_DEP_1) | instskip(NEXT) | instid1(VALU_DEP_1)
	v_fma_f64 v[18:19], -v[14:15], v[16:17], 1.0
	v_fma_f64 v[16:17], v[16:17], v[18:19], v[16:17]
	s_delay_alu instid0(VALU_DEP_1) | instskip(NEXT) | instid1(VALU_DEP_1)
	v_mul_f64 v[18:19], v[20:21], v[16:17]
	v_fma_f64 v[14:15], -v[14:15], v[18:19], v[20:21]
	s_waitcnt lgkmcnt(0)
	v_mul_f64 v[20:21], v[3:4], v[7:8]
	v_mul_f64 v[3:4], v[3:4], -v[5:6]
	s_delay_alu instid0(VALU_DEP_3) | instskip(NEXT) | instid1(VALU_DEP_3)
	v_div_fmas_f64 v[14:15], v[14:15], v[16:17], v[18:19]
	v_fma_f64 v[5:6], v[5:6], v[1:2], v[20:21]
	s_delay_alu instid0(VALU_DEP_3) | instskip(NEXT) | instid1(VALU_DEP_3)
	v_fma_f64 v[3:4], v[7:8], v[1:2], v[3:4]
                                        ; implicit-def: $vgpr8
                                        ; implicit-def: $vgpr7
	v_div_fixup_f64 v[9:10], v[14:15], v[9:10], 1.0
	s_delay_alu instid0(VALU_DEP_1) | instskip(NEXT) | instid1(VALU_DEP_3)
	v_mul_f64 v[1:2], v[9:10], v[5:6]
	v_mul_f64 v[3:4], v[9:10], v[3:4]
                                        ; implicit-def: $vgpr6
                                        ; implicit-def: $vgpr5
.LBB75_11:
	s_and_not1_saveexec_b32 s1, s1
	s_cbranch_execz .LBB75_13
; %bb.12:
	ds_load_b128 v[0:3], v6
	ds_load_b128 v[14:17], v13 offset:256
	ds_load_b128 v[18:21], v6 offset:256
	ds_load_b128 v[22:25], v5
	s_waitcnt lgkmcnt(1)
	v_mul_f64 v[4:5], v[2:3], v[18:19]
	s_waitcnt lgkmcnt(0)
	v_mul_f64 v[9:10], v[16:17], v[22:23]
	v_mul_f64 v[26:27], v[2:3], -v[20:21]
	v_mul_f64 v[28:29], v[16:17], -v[24:25]
	s_delay_alu instid0(VALU_DEP_4) | instskip(NEXT) | instid1(VALU_DEP_4)
	v_fma_f64 v[4:5], v[20:21], v[0:1], v[4:5]
	v_fma_f64 v[9:10], v[24:25], v[14:15], v[9:10]
	s_delay_alu instid0(VALU_DEP_4) | instskip(NEXT) | instid1(VALU_DEP_4)
	v_fma_f64 v[26:27], v[18:19], v[0:1], v[26:27]
	v_fma_f64 v[28:29], v[22:23], v[14:15], v[28:29]
	s_delay_alu instid0(VALU_DEP_3) | instskip(NEXT) | instid1(VALU_DEP_2)
	v_add_f64 v[4:5], v[4:5], -v[9:10]
	v_add_f64 v[9:10], v[26:27], -v[28:29]
	s_delay_alu instid0(VALU_DEP_2) | instskip(NEXT) | instid1(VALU_DEP_1)
	v_mul_f64 v[26:27], v[4:5], v[4:5]
	v_fma_f64 v[34:35], v[9:10], v[9:10], v[26:27]
	s_delay_alu instid0(VALU_DEP_1) | instskip(SKIP_1) | instid1(VALU_DEP_2)
	v_div_scale_f64 v[26:27], null, v[34:35], v[34:35], 1.0
	v_div_scale_f64 v[32:33], vcc_lo, 1.0, v[34:35], 1.0
	v_rcp_f64_e32 v[28:29], v[26:27]
	s_waitcnt_depctr 0xfff
	v_fma_f64 v[30:31], -v[26:27], v[28:29], 1.0
	s_delay_alu instid0(VALU_DEP_1) | instskip(NEXT) | instid1(VALU_DEP_1)
	v_fma_f64 v[28:29], v[28:29], v[30:31], v[28:29]
	v_fma_f64 v[30:31], -v[26:27], v[28:29], 1.0
	s_delay_alu instid0(VALU_DEP_1) | instskip(NEXT) | instid1(VALU_DEP_1)
	v_fma_f64 v[36:37], v[28:29], v[30:31], v[28:29]
	v_mul_f64 v[38:39], v[32:33], v[36:37]
	s_delay_alu instid0(VALU_DEP_1)
	v_fma_f64 v[40:41], -v[26:27], v[38:39], v[32:33]
	ds_load_b128 v[26:29], v8
	ds_load_b128 v[30:33], v8 offset:256
	s_waitcnt lgkmcnt(1)
	v_mul_f64 v[42:43], v[28:29], -v[20:21]
	v_mul_f64 v[44:45], v[18:19], v[28:29]
	s_waitcnt lgkmcnt(0)
	v_mul_f64 v[46:47], v[32:33], -v[24:25]
	v_mul_f64 v[48:49], v[22:23], v[32:33]
	v_mul_f64 v[50:51], v[2:3], -v[32:33]
	v_mul_f64 v[2:3], v[2:3], v[30:31]
	v_div_fmas_f64 v[36:37], v[40:41], v[36:37], v[38:39]
	v_mul_f64 v[38:39], v[16:17], v[26:27]
	v_mul_f64 v[16:17], v[16:17], -v[28:29]
	v_fma_f64 v[40:41], v[9:10], 0, -v[4:5]
	v_fma_f64 v[4:5], v[4:5], 0, v[9:10]
	v_fma_f64 v[18:19], v[18:19], v[26:27], v[42:43]
	;; [unrolled: 1-line block ×7, first 2 shown]
	v_div_fixup_f64 v[34:35], v[36:37], v[34:35], 1.0
	v_fma_f64 v[2:3], v[28:29], v[14:15], v[38:39]
	v_fma_f64 v[14:15], v[26:27], v[14:15], v[16:17]
	v_add_f64 v[18:19], v[18:19], -v[22:23]
	v_add_f64 v[16:17], v[20:21], -v[24:25]
	v_mul_f64 v[8:9], v[40:41], v[34:35]
	v_add_f64 v[20:21], v[0:1], -v[2:3]
	v_add_f64 v[0:1], v[30:31], -v[14:15]
	v_mul_f64 v[3:4], v[4:5], v[34:35]
	s_delay_alu instid0(VALU_DEP_4) | instskip(SKIP_3) | instid1(VALU_DEP_4)
	v_mul_f64 v[5:6], v[8:9], -v[16:17]
	v_mul_f64 v[22:23], v[8:9], v[18:19]
	v_mul_f64 v[24:25], v[8:9], -v[20:21]
	v_mul_f64 v[8:9], v[8:9], v[0:1]
	v_fma_f64 v[14:15], v[18:19], v[3:4], v[5:6]
	s_delay_alu instid0(VALU_DEP_4) | instskip(NEXT) | instid1(VALU_DEP_4)
	v_fma_f64 v[16:17], v[16:17], v[3:4], v[22:23]
	v_fma_f64 v[1:2], v[0:1], v[3:4], v[24:25]
	s_delay_alu instid0(VALU_DEP_4)
	v_fma_f64 v[3:4], v[20:21], v[3:4], v[8:9]
	v_mov_b32_e32 v0, v7
	ds_store_b128 v13, v[14:17] offset:1536
.LBB75_13:
	s_or_b32 exec_lo, exec_lo, s1
	v_lshlrev_b32_e32 v0, 4, v0
	ds_store_b128 v0, v[1:4] offset:1536
.LBB75_14:
	s_or_b32 exec_lo, exec_lo, s0
	s_waitcnt vmcnt(0) lgkmcnt(0)
	s_waitcnt_vscnt null, 0x0
	; wave barrier
	s_waitcnt lgkmcnt(0)
	buffer_gl0_inv
	s_and_saveexec_b32 s0, s2
	s_cbranch_execz .LBB75_16
; %bb.15:
	ds_load_2addr_b64 v[0:3], v13 offset0:192 offset1:193
	v_lshlrev_b64 v[4:5], 4, v[11:12]
	s_delay_alu instid0(VALU_DEP_1) | instskip(NEXT) | instid1(VALU_DEP_2)
	v_add_co_u32 v4, vcc_lo, s4, v4
	v_add_co_ci_u32_e32 v5, vcc_lo, s5, v5, vcc_lo
	s_waitcnt lgkmcnt(0)
	global_store_b128 v[4:5], v[0:3], off
.LBB75_16:
	s_nop 0
	s_sendmsg sendmsg(MSG_DEALLOC_VGPRS)
	s_endpgm
	.section	.rodata,"a",@progbits
	.p2align	6, 0x0
	.amdhsa_kernel _ZN9rocsparseL44gtsv_nopivot_strided_batch_pcr_shared_kernelILj32E21rocsparse_complex_numIdEEEviiiPKT0_S5_S5_PS3_
		.amdhsa_group_segment_fixed_size 2560
		.amdhsa_private_segment_fixed_size 0
		.amdhsa_kernarg_size 48
		.amdhsa_user_sgpr_count 15
		.amdhsa_user_sgpr_dispatch_ptr 0
		.amdhsa_user_sgpr_queue_ptr 0
		.amdhsa_user_sgpr_kernarg_segment_ptr 1
		.amdhsa_user_sgpr_dispatch_id 0
		.amdhsa_user_sgpr_private_segment_size 0
		.amdhsa_wavefront_size32 1
		.amdhsa_uses_dynamic_stack 0
		.amdhsa_enable_private_segment 0
		.amdhsa_system_sgpr_workgroup_id_x 1
		.amdhsa_system_sgpr_workgroup_id_y 0
		.amdhsa_system_sgpr_workgroup_id_z 0
		.amdhsa_system_sgpr_workgroup_info 0
		.amdhsa_system_vgpr_workitem_id 0
		.amdhsa_next_free_vgpr 62
		.amdhsa_next_free_sgpr 16
		.amdhsa_reserve_vcc 1
		.amdhsa_float_round_mode_32 0
		.amdhsa_float_round_mode_16_64 0
		.amdhsa_float_denorm_mode_32 3
		.amdhsa_float_denorm_mode_16_64 3
		.amdhsa_dx10_clamp 1
		.amdhsa_ieee_mode 1
		.amdhsa_fp16_overflow 0
		.amdhsa_workgroup_processor_mode 1
		.amdhsa_memory_ordered 1
		.amdhsa_forward_progress 0
		.amdhsa_shared_vgpr_count 0
		.amdhsa_exception_fp_ieee_invalid_op 0
		.amdhsa_exception_fp_denorm_src 0
		.amdhsa_exception_fp_ieee_div_zero 0
		.amdhsa_exception_fp_ieee_overflow 0
		.amdhsa_exception_fp_ieee_underflow 0
		.amdhsa_exception_fp_ieee_inexact 0
		.amdhsa_exception_int_div_zero 0
	.end_amdhsa_kernel
	.section	.text._ZN9rocsparseL44gtsv_nopivot_strided_batch_pcr_shared_kernelILj32E21rocsparse_complex_numIdEEEviiiPKT0_S5_S5_PS3_,"axG",@progbits,_ZN9rocsparseL44gtsv_nopivot_strided_batch_pcr_shared_kernelILj32E21rocsparse_complex_numIdEEEviiiPKT0_S5_S5_PS3_,comdat
.Lfunc_end75:
	.size	_ZN9rocsparseL44gtsv_nopivot_strided_batch_pcr_shared_kernelILj32E21rocsparse_complex_numIdEEEviiiPKT0_S5_S5_PS3_, .Lfunc_end75-_ZN9rocsparseL44gtsv_nopivot_strided_batch_pcr_shared_kernelILj32E21rocsparse_complex_numIdEEEviiiPKT0_S5_S5_PS3_
                                        ; -- End function
	.section	.AMDGPU.csdata,"",@progbits
; Kernel info:
; codeLenInByte = 4612
; NumSgprs: 18
; NumVgprs: 62
; ScratchSize: 0
; MemoryBound: 1
; FloatMode: 240
; IeeeMode: 1
; LDSByteSize: 2560 bytes/workgroup (compile time only)
; SGPRBlocks: 2
; VGPRBlocks: 7
; NumSGPRsForWavesPerEU: 18
; NumVGPRsForWavesPerEU: 62
; Occupancy: 13
; WaveLimiterHint : 0
; COMPUTE_PGM_RSRC2:SCRATCH_EN: 0
; COMPUTE_PGM_RSRC2:USER_SGPR: 15
; COMPUTE_PGM_RSRC2:TRAP_HANDLER: 0
; COMPUTE_PGM_RSRC2:TGID_X_EN: 1
; COMPUTE_PGM_RSRC2:TGID_Y_EN: 0
; COMPUTE_PGM_RSRC2:TGID_Z_EN: 0
; COMPUTE_PGM_RSRC2:TIDIG_COMP_CNT: 0
	.section	.text._ZN9rocsparseL44gtsv_nopivot_strided_batch_pcr_shared_kernelILj64E21rocsparse_complex_numIdEEEviiiPKT0_S5_S5_PS3_,"axG",@progbits,_ZN9rocsparseL44gtsv_nopivot_strided_batch_pcr_shared_kernelILj64E21rocsparse_complex_numIdEEEviiiPKT0_S5_S5_PS3_,comdat
	.globl	_ZN9rocsparseL44gtsv_nopivot_strided_batch_pcr_shared_kernelILj64E21rocsparse_complex_numIdEEEviiiPKT0_S5_S5_PS3_ ; -- Begin function _ZN9rocsparseL44gtsv_nopivot_strided_batch_pcr_shared_kernelILj64E21rocsparse_complex_numIdEEEviiiPKT0_S5_S5_PS3_
	.p2align	8
	.type	_ZN9rocsparseL44gtsv_nopivot_strided_batch_pcr_shared_kernelILj64E21rocsparse_complex_numIdEEEviiiPKT0_S5_S5_PS3_,@function
_ZN9rocsparseL44gtsv_nopivot_strided_batch_pcr_shared_kernelILj64E21rocsparse_complex_numIdEEEviiiPKT0_S5_S5_PS3_: ; @_ZN9rocsparseL44gtsv_nopivot_strided_batch_pcr_shared_kernelILj64E21rocsparse_complex_numIdEEEviiiPKT0_S5_S5_PS3_
; %bb.0:
	s_clause 0x1
	s_load_b32 s2, s[0:1], 0x8
	s_load_b32 s3, s[0:1], 0x0
	v_mov_b32_e32 v3, 0
	v_mov_b32_e32 v4, 0
	s_delay_alu instid0(VALU_DEP_1) | instskip(SKIP_4) | instid1(VALU_DEP_2)
	v_dual_mov_b32 v8, v4 :: v_dual_mov_b32 v7, v3
	v_dual_mov_b32 v10, v4 :: v_dual_mov_b32 v9, v3
	s_waitcnt lgkmcnt(0)
	v_mad_u64_u32 v[11:12], null, s15, s2, v[0:1]
	v_cmp_gt_i32_e64 s2, s3, v0
	v_ashrrev_i32_e32 v12, 31, v11
	s_delay_alu instid0(VALU_DEP_2)
	s_and_saveexec_b32 s4, s2
	s_cbranch_execz .LBB76_2
; %bb.1:
	s_load_b64 s[6:7], s[0:1], 0x10
	s_delay_alu instid0(VALU_DEP_1) | instskip(SKIP_1) | instid1(VALU_DEP_1)
	v_lshlrev_b64 v[1:2], 4, v[11:12]
	s_waitcnt lgkmcnt(0)
	v_add_co_u32 v1, vcc_lo, s6, v1
	s_delay_alu instid0(VALU_DEP_2)
	v_add_co_ci_u32_e32 v2, vcc_lo, s7, v2, vcc_lo
	global_load_b128 v[7:10], v[1:2], off
.LBB76_2:
	s_or_b32 exec_lo, exec_lo, s4
	v_dual_mov_b32 v6, v4 :: v_dual_lshlrev_b32 v13, 4, v0
	v_mov_b32_e32 v5, v3
	s_waitcnt vmcnt(0)
	ds_store_b128 v13, v[7:10]
	s_and_saveexec_b32 s4, s2
	s_cbranch_execz .LBB76_4
; %bb.3:
	s_load_b64 s[6:7], s[0:1], 0x18
	v_lshlrev_b64 v[1:2], 4, v[11:12]
	s_waitcnt lgkmcnt(0)
	s_delay_alu instid0(VALU_DEP_1) | instskip(NEXT) | instid1(VALU_DEP_2)
	v_add_co_u32 v1, vcc_lo, s6, v1
	v_add_co_ci_u32_e32 v2, vcc_lo, s7, v2, vcc_lo
	global_load_b128 v[3:6], v[1:2], off
.LBB76_4:
	s_or_b32 exec_lo, exec_lo, s4
	s_load_b64 s[4:5], s[0:1], 0x28
	v_mov_b32_e32 v1, 0
	v_mov_b32_e32 v2, 0
	s_waitcnt vmcnt(0)
	ds_store_b128 v13, v[3:6] offset:1024
	v_dual_mov_b32 v8, v2 :: v_dual_mov_b32 v7, v1
	v_dual_mov_b32 v10, v2 :: v_dual_mov_b32 v9, v1
	s_and_saveexec_b32 s6, s2
	s_cbranch_execz .LBB76_6
; %bb.5:
	s_load_b64 s[0:1], s[0:1], 0x20
	v_lshlrev_b64 v[3:4], 4, v[11:12]
	s_waitcnt lgkmcnt(0)
	s_delay_alu instid0(VALU_DEP_1) | instskip(NEXT) | instid1(VALU_DEP_2)
	v_add_co_u32 v3, vcc_lo, s0, v3
	v_add_co_ci_u32_e32 v4, vcc_lo, s1, v4, vcc_lo
	global_load_b128 v[7:10], v[3:4], off
.LBB76_6:
	s_or_b32 exec_lo, exec_lo, s6
	v_or_b32_e32 v6, 0x400, v13
	v_or_b32_e32 v5, 0x800, v13
	v_dual_mov_b32 v4, v2 :: v_dual_mov_b32 v3, v1
	s_waitcnt vmcnt(0)
	ds_store_b128 v13, v[7:10] offset:2048
	s_and_saveexec_b32 s0, s2
	s_cbranch_execz .LBB76_8
; %bb.7:
	v_lshlrev_b64 v[1:2], 4, v[11:12]
	s_waitcnt lgkmcnt(0)
	s_delay_alu instid0(VALU_DEP_1) | instskip(NEXT) | instid1(VALU_DEP_2)
	v_add_co_u32 v1, vcc_lo, s4, v1
	v_add_co_ci_u32_e32 v2, vcc_lo, s5, v2, vcc_lo
	global_load_b128 v[1:4], v[1:2], off
.LBB76_8:
	s_or_b32 exec_lo, exec_lo, s0
	v_max_u32_e32 v7, 1, v0
	s_waitcnt vmcnt(0)
	ds_store_b128 v13, v[1:4] offset:4096
	s_waitcnt lgkmcnt(0)
	s_barrier
	buffer_gl0_inv
	v_lshlrev_b32_e32 v54, 4, v7
	v_add_nc_u32_e32 v14, 1, v0
	s_add_i32 s1, s3, -1
	ds_load_b128 v[1:4], v54 offset:1008
	ds_load_b128 v[7:10], v54 offset:2032
	v_cmp_gt_i32_e32 vcc_lo, s3, v14
	v_cndmask_b32_e32 v14, s1, v14, vcc_lo
	s_delay_alu instid0(VALU_DEP_1)
	v_lshlrev_b32_e32 v56, 4, v14
	ds_load_b128 v[14:17], v56 offset:1024
	ds_load_b128 v[18:21], v56
	s_waitcnt lgkmcnt(3)
	v_mul_f64 v[22:23], v[3:4], v[3:4]
	s_waitcnt lgkmcnt(1)
	v_mul_f64 v[24:25], v[16:17], v[16:17]
	s_delay_alu instid0(VALU_DEP_2) | instskip(NEXT) | instid1(VALU_DEP_2)
	v_fma_f64 v[38:39], v[1:2], v[1:2], v[22:23]
	v_fma_f64 v[40:41], v[14:15], v[14:15], v[24:25]
	s_delay_alu instid0(VALU_DEP_2) | instskip(SKIP_1) | instid1(VALU_DEP_3)
	v_div_scale_f64 v[22:23], null, v[38:39], v[38:39], 1.0
	v_div_scale_f64 v[34:35], vcc_lo, 1.0, v[38:39], 1.0
	v_div_scale_f64 v[30:31], null, v[40:41], v[40:41], 1.0
	v_div_scale_f64 v[42:43], s0, 1.0, v[40:41], 1.0
	s_delay_alu instid0(VALU_DEP_4) | instskip(NEXT) | instid1(VALU_DEP_2)
	v_rcp_f64_e32 v[24:25], v[22:23]
	v_rcp_f64_e32 v[26:27], v[30:31]
	s_waitcnt_depctr 0xfff
	v_fma_f64 v[28:29], -v[22:23], v[24:25], 1.0
	v_fma_f64 v[32:33], -v[30:31], v[26:27], 1.0
	s_delay_alu instid0(VALU_DEP_2) | instskip(NEXT) | instid1(VALU_DEP_2)
	v_fma_f64 v[24:25], v[24:25], v[28:29], v[24:25]
	v_fma_f64 v[26:27], v[26:27], v[32:33], v[26:27]
	s_delay_alu instid0(VALU_DEP_2) | instskip(NEXT) | instid1(VALU_DEP_2)
	v_fma_f64 v[28:29], -v[22:23], v[24:25], 1.0
	v_fma_f64 v[32:33], -v[30:31], v[26:27], 1.0
	s_delay_alu instid0(VALU_DEP_2) | instskip(NEXT) | instid1(VALU_DEP_2)
	v_fma_f64 v[36:37], v[24:25], v[28:29], v[24:25]
	v_fma_f64 v[44:45], v[26:27], v[32:33], v[26:27]
	s_delay_alu instid0(VALU_DEP_2) | instskip(NEXT) | instid1(VALU_DEP_2)
	v_mul_f64 v[32:33], v[34:35], v[36:37]
	v_mul_f64 v[46:47], v[42:43], v[44:45]
	s_delay_alu instid0(VALU_DEP_2)
	v_fma_f64 v[34:35], -v[22:23], v[32:33], v[34:35]
	ds_load_b128 v[22:25], v13
	ds_load_b128 v[26:29], v6
	v_fma_f64 v[42:43], -v[30:31], v[46:47], v[42:43]
	s_waitcnt lgkmcnt(1)
	v_mul_f64 v[48:49], v[3:4], -v[22:23]
	v_mul_f64 v[3:4], v[3:4], v[24:25]
	v_div_fmas_f64 v[50:51], v[34:35], v[36:37], v[32:33]
	ds_load_b128 v[30:33], v5
	ds_load_b128 v[34:37], v13 offset:4096
	s_mov_b32 vcc_lo, s0
	v_div_fmas_f64 v[42:43], v[42:43], v[44:45], v[46:47]
	s_waitcnt lgkmcnt(1)
	v_mul_f64 v[52:53], v[16:17], -v[30:31]
	v_fma_f64 v[24:25], v[24:25], v[1:2], v[48:49]
	v_mul_f64 v[16:17], v[16:17], v[32:33]
	v_fma_f64 v[22:23], v[22:23], v[1:2], v[3:4]
	ds_load_b128 v[1:4], v54 offset:4080
	v_div_fixup_f64 v[38:39], v[50:51], v[38:39], 1.0
	v_div_fixup_f64 v[40:41], v[42:43], v[40:41], 1.0
	v_fma_f64 v[32:33], v[32:33], v[14:15], v[52:53]
	v_fma_f64 v[44:45], v[30:31], v[14:15], v[16:17]
	s_delay_alu instid0(VALU_DEP_4)
	v_mul_f64 v[42:43], v[38:39], v[24:25]
	v_add_nc_u32_e32 v24, -16, v54
	v_mul_f64 v[38:39], v[38:39], v[22:23]
	ds_load_b128 v[14:17], v24
	v_mul_f64 v[46:47], v[40:41], v[32:33]
	ds_load_b128 v[22:25], v56 offset:4096
	ds_load_b128 v[30:33], v56 offset:2048
	v_mul_f64 v[40:41], v[40:41], v[44:45]
	s_waitcnt lgkmcnt(0)
	s_barrier
	buffer_gl0_inv
	v_mul_f64 v[48:49], v[42:43], -v[9:10]
	v_mul_f64 v[50:51], v[42:43], v[7:8]
	v_mul_f64 v[52:53], v[42:43], -v[3:4]
	v_mul_f64 v[54:55], v[42:43], v[1:2]
	;; [unrolled: 2-line block ×4, first 2 shown]
	v_fma_f64 v[7:8], v[7:8], v[38:39], v[48:49]
	v_fma_f64 v[9:10], v[9:10], v[38:39], v[50:51]
	;; [unrolled: 1-line block ×4, first 2 shown]
	v_mul_f64 v[48:49], v[42:43], v[16:17]
	v_mul_f64 v[42:43], v[42:43], -v[14:15]
	v_mul_f64 v[50:51], v[46:47], v[32:33]
	v_fma_f64 v[18:19], v[18:19], v[40:41], v[44:45]
	v_fma_f64 v[20:21], v[20:21], v[40:41], v[56:57]
	;; [unrolled: 1-line block ×4, first 2 shown]
	v_add_f64 v[26:27], v[26:27], -v[7:8]
	v_add_f64 v[9:10], v[28:29], -v[9:10]
	v_add_f64 v[28:29], v[34:35], -v[1:2]
	v_add_f64 v[34:35], v[36:37], -v[3:4]
	v_mul_f64 v[36:37], v[46:47], -v[30:31]
	v_fma_f64 v[1:2], -v[14:15], v[38:39], v[48:49]
	v_fma_f64 v[3:4], -v[16:17], v[38:39], v[42:43]
	;; [unrolled: 1-line block ×3, first 2 shown]
	v_add_f64 v[14:15], v[26:27], -v[18:19]
	v_add_f64 v[16:17], v[9:10], -v[20:21]
	;; [unrolled: 1-line block ×4, first 2 shown]
	v_fma_f64 v[9:10], -v[32:33], v[40:41], v[36:37]
	v_max_u32_e32 v22, 2, v0
	ds_store_b128 v6, v[14:17]
	ds_store_b128 v13, v[1:4]
	ds_store_b128 v13, v[18:21] offset:4096
	ds_store_b128 v5, v[7:10]
	v_lshlrev_b32_e32 v54, 4, v22
	s_waitcnt lgkmcnt(0)
	s_barrier
	buffer_gl0_inv
	v_add_nc_u32_e32 v14, 2, v0
	ds_load_b128 v[1:4], v54 offset:992
	ds_load_b128 v[7:10], v54 offset:2016
	v_cmp_gt_i32_e32 vcc_lo, s3, v14
	v_cndmask_b32_e32 v14, s1, v14, vcc_lo
	s_delay_alu instid0(VALU_DEP_1)
	v_lshlrev_b32_e32 v56, 4, v14
	ds_load_b128 v[14:17], v56 offset:1024
	ds_load_b128 v[18:21], v56
	s_waitcnt lgkmcnt(3)
	v_mul_f64 v[22:23], v[3:4], v[3:4]
	s_waitcnt lgkmcnt(1)
	v_mul_f64 v[24:25], v[16:17], v[16:17]
	s_delay_alu instid0(VALU_DEP_2) | instskip(NEXT) | instid1(VALU_DEP_2)
	v_fma_f64 v[38:39], v[1:2], v[1:2], v[22:23]
	v_fma_f64 v[40:41], v[14:15], v[14:15], v[24:25]
	s_delay_alu instid0(VALU_DEP_2) | instskip(SKIP_1) | instid1(VALU_DEP_3)
	v_div_scale_f64 v[22:23], null, v[38:39], v[38:39], 1.0
	v_div_scale_f64 v[34:35], vcc_lo, 1.0, v[38:39], 1.0
	v_div_scale_f64 v[30:31], null, v[40:41], v[40:41], 1.0
	v_div_scale_f64 v[42:43], s0, 1.0, v[40:41], 1.0
	s_delay_alu instid0(VALU_DEP_4) | instskip(NEXT) | instid1(VALU_DEP_2)
	v_rcp_f64_e32 v[24:25], v[22:23]
	v_rcp_f64_e32 v[26:27], v[30:31]
	s_waitcnt_depctr 0xfff
	v_fma_f64 v[28:29], -v[22:23], v[24:25], 1.0
	v_fma_f64 v[32:33], -v[30:31], v[26:27], 1.0
	s_delay_alu instid0(VALU_DEP_2) | instskip(NEXT) | instid1(VALU_DEP_2)
	v_fma_f64 v[24:25], v[24:25], v[28:29], v[24:25]
	v_fma_f64 v[26:27], v[26:27], v[32:33], v[26:27]
	s_delay_alu instid0(VALU_DEP_2) | instskip(NEXT) | instid1(VALU_DEP_2)
	v_fma_f64 v[28:29], -v[22:23], v[24:25], 1.0
	v_fma_f64 v[32:33], -v[30:31], v[26:27], 1.0
	s_delay_alu instid0(VALU_DEP_2) | instskip(NEXT) | instid1(VALU_DEP_2)
	v_fma_f64 v[36:37], v[24:25], v[28:29], v[24:25]
	v_fma_f64 v[44:45], v[26:27], v[32:33], v[26:27]
	s_delay_alu instid0(VALU_DEP_2) | instskip(NEXT) | instid1(VALU_DEP_2)
	v_mul_f64 v[32:33], v[34:35], v[36:37]
	v_mul_f64 v[46:47], v[42:43], v[44:45]
	s_delay_alu instid0(VALU_DEP_2)
	v_fma_f64 v[34:35], -v[22:23], v[32:33], v[34:35]
	ds_load_b128 v[22:25], v13
	ds_load_b128 v[26:29], v6
	v_fma_f64 v[42:43], -v[30:31], v[46:47], v[42:43]
	s_waitcnt lgkmcnt(1)
	v_mul_f64 v[48:49], v[3:4], -v[22:23]
	v_mul_f64 v[3:4], v[3:4], v[24:25]
	v_div_fmas_f64 v[50:51], v[34:35], v[36:37], v[32:33]
	ds_load_b128 v[30:33], v5
	ds_load_b128 v[34:37], v13 offset:4096
	s_mov_b32 vcc_lo, s0
	v_div_fmas_f64 v[42:43], v[42:43], v[44:45], v[46:47]
	s_waitcnt lgkmcnt(1)
	v_mul_f64 v[52:53], v[16:17], -v[30:31]
	v_fma_f64 v[24:25], v[24:25], v[1:2], v[48:49]
	v_mul_f64 v[16:17], v[16:17], v[32:33]
	v_fma_f64 v[22:23], v[22:23], v[1:2], v[3:4]
	ds_load_b128 v[1:4], v54 offset:4064
	v_div_fixup_f64 v[38:39], v[50:51], v[38:39], 1.0
	v_div_fixup_f64 v[40:41], v[42:43], v[40:41], 1.0
	v_fma_f64 v[32:33], v[32:33], v[14:15], v[52:53]
	v_fma_f64 v[44:45], v[30:31], v[14:15], v[16:17]
	s_delay_alu instid0(VALU_DEP_4)
	v_mul_f64 v[42:43], v[38:39], v[24:25]
	v_subrev_nc_u32_e32 v24, 32, v54
	v_mul_f64 v[38:39], v[38:39], v[22:23]
	ds_load_b128 v[14:17], v24
	v_mul_f64 v[46:47], v[40:41], v[32:33]
	ds_load_b128 v[22:25], v56 offset:4096
	ds_load_b128 v[30:33], v56 offset:2048
	v_mul_f64 v[40:41], v[40:41], v[44:45]
	s_waitcnt lgkmcnt(0)
	s_barrier
	buffer_gl0_inv
	v_mul_f64 v[48:49], v[42:43], -v[9:10]
	v_mul_f64 v[50:51], v[42:43], v[7:8]
	v_mul_f64 v[52:53], v[42:43], -v[3:4]
	v_mul_f64 v[54:55], v[42:43], v[1:2]
	;; [unrolled: 2-line block ×4, first 2 shown]
	v_fma_f64 v[7:8], v[7:8], v[38:39], v[48:49]
	v_fma_f64 v[9:10], v[9:10], v[38:39], v[50:51]
	;; [unrolled: 1-line block ×4, first 2 shown]
	v_mul_f64 v[48:49], v[42:43], v[16:17]
	v_mul_f64 v[42:43], v[42:43], -v[14:15]
	v_mul_f64 v[50:51], v[46:47], v[32:33]
	v_fma_f64 v[18:19], v[18:19], v[40:41], v[44:45]
	v_fma_f64 v[20:21], v[20:21], v[40:41], v[56:57]
	;; [unrolled: 1-line block ×4, first 2 shown]
	v_add_f64 v[26:27], v[26:27], -v[7:8]
	v_add_f64 v[9:10], v[28:29], -v[9:10]
	;; [unrolled: 1-line block ×4, first 2 shown]
	v_mul_f64 v[36:37], v[46:47], -v[30:31]
	v_fma_f64 v[1:2], -v[14:15], v[38:39], v[48:49]
	v_fma_f64 v[3:4], -v[16:17], v[38:39], v[42:43]
	;; [unrolled: 1-line block ×3, first 2 shown]
	v_add_f64 v[14:15], v[26:27], -v[18:19]
	v_add_f64 v[16:17], v[9:10], -v[20:21]
	;; [unrolled: 1-line block ×4, first 2 shown]
	v_fma_f64 v[9:10], -v[32:33], v[40:41], v[36:37]
	v_max_u32_e32 v22, 4, v0
	ds_store_b128 v6, v[14:17]
	ds_store_b128 v13, v[1:4]
	ds_store_b128 v13, v[18:21] offset:4096
	ds_store_b128 v5, v[7:10]
	v_lshlrev_b32_e32 v54, 4, v22
	s_waitcnt lgkmcnt(0)
	s_barrier
	buffer_gl0_inv
	v_add_nc_u32_e32 v14, 4, v0
	ds_load_b128 v[1:4], v54 offset:960
	ds_load_b128 v[7:10], v54 offset:1984
	v_cmp_gt_i32_e32 vcc_lo, s3, v14
	v_cndmask_b32_e32 v14, s1, v14, vcc_lo
	s_delay_alu instid0(VALU_DEP_1)
	v_lshlrev_b32_e32 v56, 4, v14
	ds_load_b128 v[14:17], v56 offset:1024
	ds_load_b128 v[18:21], v56
	s_waitcnt lgkmcnt(3)
	v_mul_f64 v[22:23], v[3:4], v[3:4]
	s_waitcnt lgkmcnt(1)
	v_mul_f64 v[24:25], v[16:17], v[16:17]
	s_delay_alu instid0(VALU_DEP_2) | instskip(NEXT) | instid1(VALU_DEP_2)
	v_fma_f64 v[38:39], v[1:2], v[1:2], v[22:23]
	v_fma_f64 v[40:41], v[14:15], v[14:15], v[24:25]
	s_delay_alu instid0(VALU_DEP_2) | instskip(SKIP_1) | instid1(VALU_DEP_3)
	v_div_scale_f64 v[22:23], null, v[38:39], v[38:39], 1.0
	v_div_scale_f64 v[34:35], vcc_lo, 1.0, v[38:39], 1.0
	v_div_scale_f64 v[30:31], null, v[40:41], v[40:41], 1.0
	v_div_scale_f64 v[42:43], s0, 1.0, v[40:41], 1.0
	s_delay_alu instid0(VALU_DEP_4) | instskip(NEXT) | instid1(VALU_DEP_2)
	v_rcp_f64_e32 v[24:25], v[22:23]
	v_rcp_f64_e32 v[26:27], v[30:31]
	s_waitcnt_depctr 0xfff
	v_fma_f64 v[28:29], -v[22:23], v[24:25], 1.0
	v_fma_f64 v[32:33], -v[30:31], v[26:27], 1.0
	s_delay_alu instid0(VALU_DEP_2) | instskip(NEXT) | instid1(VALU_DEP_2)
	v_fma_f64 v[24:25], v[24:25], v[28:29], v[24:25]
	v_fma_f64 v[26:27], v[26:27], v[32:33], v[26:27]
	s_delay_alu instid0(VALU_DEP_2) | instskip(NEXT) | instid1(VALU_DEP_2)
	v_fma_f64 v[28:29], -v[22:23], v[24:25], 1.0
	v_fma_f64 v[32:33], -v[30:31], v[26:27], 1.0
	s_delay_alu instid0(VALU_DEP_2) | instskip(NEXT) | instid1(VALU_DEP_2)
	v_fma_f64 v[36:37], v[24:25], v[28:29], v[24:25]
	v_fma_f64 v[44:45], v[26:27], v[32:33], v[26:27]
	s_delay_alu instid0(VALU_DEP_2) | instskip(NEXT) | instid1(VALU_DEP_2)
	v_mul_f64 v[32:33], v[34:35], v[36:37]
	v_mul_f64 v[46:47], v[42:43], v[44:45]
	s_delay_alu instid0(VALU_DEP_2)
	v_fma_f64 v[34:35], -v[22:23], v[32:33], v[34:35]
	ds_load_b128 v[22:25], v13
	ds_load_b128 v[26:29], v6
	v_fma_f64 v[42:43], -v[30:31], v[46:47], v[42:43]
	s_waitcnt lgkmcnt(1)
	v_mul_f64 v[48:49], v[3:4], -v[22:23]
	v_mul_f64 v[3:4], v[3:4], v[24:25]
	v_div_fmas_f64 v[50:51], v[34:35], v[36:37], v[32:33]
	ds_load_b128 v[30:33], v5
	ds_load_b128 v[34:37], v13 offset:4096
	s_mov_b32 vcc_lo, s0
	v_div_fmas_f64 v[42:43], v[42:43], v[44:45], v[46:47]
	s_waitcnt lgkmcnt(1)
	v_mul_f64 v[52:53], v[16:17], -v[30:31]
	v_fma_f64 v[24:25], v[24:25], v[1:2], v[48:49]
	v_mul_f64 v[16:17], v[16:17], v[32:33]
	v_fma_f64 v[22:23], v[22:23], v[1:2], v[3:4]
	ds_load_b128 v[1:4], v54 offset:4032
	v_div_fixup_f64 v[38:39], v[50:51], v[38:39], 1.0
	v_div_fixup_f64 v[40:41], v[42:43], v[40:41], 1.0
	v_fma_f64 v[32:33], v[32:33], v[14:15], v[52:53]
	v_fma_f64 v[44:45], v[30:31], v[14:15], v[16:17]
	s_delay_alu instid0(VALU_DEP_4)
	v_mul_f64 v[42:43], v[38:39], v[24:25]
	v_subrev_nc_u32_e32 v24, 64, v54
	v_mul_f64 v[38:39], v[38:39], v[22:23]
	ds_load_b128 v[14:17], v24
	v_mul_f64 v[46:47], v[40:41], v[32:33]
	ds_load_b128 v[22:25], v56 offset:4096
	ds_load_b128 v[30:33], v56 offset:2048
	v_mul_f64 v[40:41], v[40:41], v[44:45]
	s_waitcnt lgkmcnt(0)
	s_barrier
	buffer_gl0_inv
	v_mul_f64 v[48:49], v[42:43], -v[9:10]
	v_mul_f64 v[50:51], v[42:43], v[7:8]
	v_mul_f64 v[52:53], v[42:43], -v[3:4]
	v_mul_f64 v[54:55], v[42:43], v[1:2]
	;; [unrolled: 2-line block ×4, first 2 shown]
	v_fma_f64 v[7:8], v[7:8], v[38:39], v[48:49]
	v_fma_f64 v[9:10], v[9:10], v[38:39], v[50:51]
	v_fma_f64 v[1:2], v[1:2], v[38:39], v[52:53]
	v_fma_f64 v[3:4], v[3:4], v[38:39], v[54:55]
	v_mul_f64 v[48:49], v[42:43], v[16:17]
	v_mul_f64 v[42:43], v[42:43], -v[14:15]
	v_mul_f64 v[50:51], v[46:47], v[32:33]
	v_fma_f64 v[18:19], v[18:19], v[40:41], v[44:45]
	v_fma_f64 v[20:21], v[20:21], v[40:41], v[56:57]
	;; [unrolled: 1-line block ×4, first 2 shown]
	v_add_f64 v[26:27], v[26:27], -v[7:8]
	v_add_f64 v[9:10], v[28:29], -v[9:10]
	;; [unrolled: 1-line block ×4, first 2 shown]
	v_mul_f64 v[36:37], v[46:47], -v[30:31]
	v_fma_f64 v[1:2], -v[14:15], v[38:39], v[48:49]
	v_fma_f64 v[3:4], -v[16:17], v[38:39], v[42:43]
	;; [unrolled: 1-line block ×3, first 2 shown]
	v_add_f64 v[14:15], v[26:27], -v[18:19]
	v_add_f64 v[16:17], v[9:10], -v[20:21]
	;; [unrolled: 1-line block ×4, first 2 shown]
	v_fma_f64 v[9:10], -v[32:33], v[40:41], v[36:37]
	v_max_u32_e32 v22, 8, v0
	ds_store_b128 v6, v[14:17]
	ds_store_b128 v13, v[1:4]
	ds_store_b128 v13, v[18:21] offset:4096
	ds_store_b128 v5, v[7:10]
	v_lshlrev_b32_e32 v54, 4, v22
	s_waitcnt lgkmcnt(0)
	s_barrier
	buffer_gl0_inv
	v_add_nc_u32_e32 v14, 8, v0
	ds_load_b128 v[1:4], v54 offset:896
	ds_load_b128 v[7:10], v54 offset:1920
	v_cmp_gt_i32_e32 vcc_lo, s3, v14
	v_cndmask_b32_e32 v14, s1, v14, vcc_lo
	s_delay_alu instid0(VALU_DEP_1)
	v_lshlrev_b32_e32 v56, 4, v14
	ds_load_b128 v[14:17], v56 offset:1024
	ds_load_b128 v[18:21], v56
	s_waitcnt lgkmcnt(3)
	v_mul_f64 v[22:23], v[3:4], v[3:4]
	s_waitcnt lgkmcnt(1)
	v_mul_f64 v[24:25], v[16:17], v[16:17]
	s_delay_alu instid0(VALU_DEP_2) | instskip(NEXT) | instid1(VALU_DEP_2)
	v_fma_f64 v[38:39], v[1:2], v[1:2], v[22:23]
	v_fma_f64 v[40:41], v[14:15], v[14:15], v[24:25]
	s_delay_alu instid0(VALU_DEP_2) | instskip(SKIP_1) | instid1(VALU_DEP_3)
	v_div_scale_f64 v[22:23], null, v[38:39], v[38:39], 1.0
	v_div_scale_f64 v[34:35], vcc_lo, 1.0, v[38:39], 1.0
	v_div_scale_f64 v[30:31], null, v[40:41], v[40:41], 1.0
	v_div_scale_f64 v[42:43], s0, 1.0, v[40:41], 1.0
	s_delay_alu instid0(VALU_DEP_4) | instskip(NEXT) | instid1(VALU_DEP_2)
	v_rcp_f64_e32 v[24:25], v[22:23]
	v_rcp_f64_e32 v[26:27], v[30:31]
	s_waitcnt_depctr 0xfff
	v_fma_f64 v[28:29], -v[22:23], v[24:25], 1.0
	v_fma_f64 v[32:33], -v[30:31], v[26:27], 1.0
	s_delay_alu instid0(VALU_DEP_2) | instskip(NEXT) | instid1(VALU_DEP_2)
	v_fma_f64 v[24:25], v[24:25], v[28:29], v[24:25]
	v_fma_f64 v[26:27], v[26:27], v[32:33], v[26:27]
	s_delay_alu instid0(VALU_DEP_2) | instskip(NEXT) | instid1(VALU_DEP_2)
	v_fma_f64 v[28:29], -v[22:23], v[24:25], 1.0
	v_fma_f64 v[32:33], -v[30:31], v[26:27], 1.0
	s_delay_alu instid0(VALU_DEP_2) | instskip(NEXT) | instid1(VALU_DEP_2)
	v_fma_f64 v[36:37], v[24:25], v[28:29], v[24:25]
	v_fma_f64 v[44:45], v[26:27], v[32:33], v[26:27]
	s_delay_alu instid0(VALU_DEP_2) | instskip(NEXT) | instid1(VALU_DEP_2)
	v_mul_f64 v[32:33], v[34:35], v[36:37]
	v_mul_f64 v[46:47], v[42:43], v[44:45]
	s_delay_alu instid0(VALU_DEP_2)
	v_fma_f64 v[34:35], -v[22:23], v[32:33], v[34:35]
	ds_load_b128 v[22:25], v13
	ds_load_b128 v[26:29], v6
	v_fma_f64 v[42:43], -v[30:31], v[46:47], v[42:43]
	s_waitcnt lgkmcnt(1)
	v_mul_f64 v[48:49], v[3:4], -v[22:23]
	v_mul_f64 v[3:4], v[3:4], v[24:25]
	v_div_fmas_f64 v[50:51], v[34:35], v[36:37], v[32:33]
	ds_load_b128 v[30:33], v5
	ds_load_b128 v[34:37], v13 offset:4096
	s_mov_b32 vcc_lo, s0
	v_div_fmas_f64 v[42:43], v[42:43], v[44:45], v[46:47]
	s_waitcnt lgkmcnt(1)
	v_mul_f64 v[52:53], v[16:17], -v[30:31]
	v_fma_f64 v[24:25], v[24:25], v[1:2], v[48:49]
	v_mul_f64 v[16:17], v[16:17], v[32:33]
	v_fma_f64 v[22:23], v[22:23], v[1:2], v[3:4]
	ds_load_b128 v[1:4], v54 offset:3968
	v_div_fixup_f64 v[38:39], v[50:51], v[38:39], 1.0
	v_div_fixup_f64 v[40:41], v[42:43], v[40:41], 1.0
	v_fma_f64 v[32:33], v[32:33], v[14:15], v[52:53]
	v_fma_f64 v[44:45], v[30:31], v[14:15], v[16:17]
	s_delay_alu instid0(VALU_DEP_4)
	v_mul_f64 v[42:43], v[38:39], v[24:25]
	v_add_nc_u32_e32 v24, 0xffffff80, v54
	v_mul_f64 v[38:39], v[38:39], v[22:23]
	ds_load_b128 v[14:17], v24
	v_mul_f64 v[46:47], v[40:41], v[32:33]
	ds_load_b128 v[22:25], v56 offset:4096
	ds_load_b128 v[30:33], v56 offset:2048
	v_mul_f64 v[40:41], v[40:41], v[44:45]
	s_waitcnt lgkmcnt(0)
	s_barrier
	buffer_gl0_inv
	v_mul_f64 v[48:49], v[42:43], -v[9:10]
	v_mul_f64 v[50:51], v[42:43], v[7:8]
	v_mul_f64 v[52:53], v[42:43], -v[3:4]
	v_mul_f64 v[54:55], v[42:43], v[1:2]
	;; [unrolled: 2-line block ×4, first 2 shown]
	v_fma_f64 v[7:8], v[7:8], v[38:39], v[48:49]
	v_fma_f64 v[9:10], v[9:10], v[38:39], v[50:51]
	;; [unrolled: 1-line block ×4, first 2 shown]
	v_mul_f64 v[48:49], v[42:43], v[16:17]
	v_mul_f64 v[42:43], v[42:43], -v[14:15]
	v_mul_f64 v[50:51], v[46:47], v[32:33]
	v_fma_f64 v[18:19], v[18:19], v[40:41], v[44:45]
	v_fma_f64 v[20:21], v[20:21], v[40:41], v[56:57]
	;; [unrolled: 1-line block ×4, first 2 shown]
	v_add_f64 v[26:27], v[26:27], -v[7:8]
	v_add_f64 v[9:10], v[28:29], -v[9:10]
	;; [unrolled: 1-line block ×4, first 2 shown]
	v_mul_f64 v[36:37], v[46:47], -v[30:31]
	v_fma_f64 v[1:2], -v[14:15], v[38:39], v[48:49]
	v_fma_f64 v[3:4], -v[16:17], v[38:39], v[42:43]
	;; [unrolled: 1-line block ×3, first 2 shown]
	v_add_f64 v[14:15], v[26:27], -v[18:19]
	v_add_f64 v[16:17], v[9:10], -v[20:21]
	;; [unrolled: 1-line block ×4, first 2 shown]
	v_fma_f64 v[9:10], -v[32:33], v[40:41], v[36:37]
	v_max_u32_e32 v22, 16, v0
	ds_store_b128 v6, v[14:17]
	ds_store_b128 v13, v[1:4]
	ds_store_b128 v13, v[18:21] offset:4096
	ds_store_b128 v5, v[7:10]
	v_lshlrev_b32_e32 v54, 4, v22
	s_waitcnt lgkmcnt(0)
	s_barrier
	buffer_gl0_inv
	v_add_nc_u32_e32 v14, 16, v0
	ds_load_b128 v[1:4], v54 offset:768
	ds_load_b128 v[7:10], v54 offset:1792
	v_cmp_gt_i32_e32 vcc_lo, s3, v14
	v_cndmask_b32_e32 v14, s1, v14, vcc_lo
	s_delay_alu instid0(VALU_DEP_1)
	v_lshlrev_b32_e32 v56, 4, v14
	ds_load_b128 v[14:17], v56 offset:1024
	ds_load_b128 v[18:21], v56
	s_waitcnt lgkmcnt(3)
	v_mul_f64 v[22:23], v[3:4], v[3:4]
	s_waitcnt lgkmcnt(1)
	v_mul_f64 v[24:25], v[16:17], v[16:17]
	s_delay_alu instid0(VALU_DEP_2) | instskip(NEXT) | instid1(VALU_DEP_2)
	v_fma_f64 v[38:39], v[1:2], v[1:2], v[22:23]
	v_fma_f64 v[40:41], v[14:15], v[14:15], v[24:25]
	s_delay_alu instid0(VALU_DEP_2) | instskip(SKIP_1) | instid1(VALU_DEP_3)
	v_div_scale_f64 v[22:23], null, v[38:39], v[38:39], 1.0
	v_div_scale_f64 v[34:35], vcc_lo, 1.0, v[38:39], 1.0
	v_div_scale_f64 v[30:31], null, v[40:41], v[40:41], 1.0
	v_div_scale_f64 v[42:43], s0, 1.0, v[40:41], 1.0
	s_delay_alu instid0(VALU_DEP_4) | instskip(NEXT) | instid1(VALU_DEP_2)
	v_rcp_f64_e32 v[24:25], v[22:23]
	v_rcp_f64_e32 v[26:27], v[30:31]
	s_waitcnt_depctr 0xfff
	v_fma_f64 v[28:29], -v[22:23], v[24:25], 1.0
	v_fma_f64 v[32:33], -v[30:31], v[26:27], 1.0
	s_delay_alu instid0(VALU_DEP_2) | instskip(NEXT) | instid1(VALU_DEP_2)
	v_fma_f64 v[24:25], v[24:25], v[28:29], v[24:25]
	v_fma_f64 v[26:27], v[26:27], v[32:33], v[26:27]
	s_delay_alu instid0(VALU_DEP_2) | instskip(NEXT) | instid1(VALU_DEP_2)
	v_fma_f64 v[28:29], -v[22:23], v[24:25], 1.0
	v_fma_f64 v[32:33], -v[30:31], v[26:27], 1.0
	s_delay_alu instid0(VALU_DEP_2) | instskip(NEXT) | instid1(VALU_DEP_2)
	v_fma_f64 v[36:37], v[24:25], v[28:29], v[24:25]
	v_fma_f64 v[44:45], v[26:27], v[32:33], v[26:27]
	s_delay_alu instid0(VALU_DEP_2) | instskip(NEXT) | instid1(VALU_DEP_2)
	v_mul_f64 v[32:33], v[34:35], v[36:37]
	v_mul_f64 v[46:47], v[42:43], v[44:45]
	s_delay_alu instid0(VALU_DEP_2)
	v_fma_f64 v[34:35], -v[22:23], v[32:33], v[34:35]
	ds_load_b128 v[22:25], v13
	ds_load_b128 v[26:29], v6
	v_fma_f64 v[42:43], -v[30:31], v[46:47], v[42:43]
	s_waitcnt lgkmcnt(1)
	v_mul_f64 v[48:49], v[3:4], -v[22:23]
	v_mul_f64 v[3:4], v[3:4], v[24:25]
	v_div_fmas_f64 v[50:51], v[34:35], v[36:37], v[32:33]
	ds_load_b128 v[30:33], v5
	ds_load_b128 v[34:37], v13 offset:4096
	s_mov_b32 vcc_lo, s0
	s_mov_b32 s0, exec_lo
	v_div_fmas_f64 v[42:43], v[42:43], v[44:45], v[46:47]
	s_waitcnt lgkmcnt(1)
	v_mul_f64 v[52:53], v[16:17], -v[30:31]
	v_fma_f64 v[24:25], v[24:25], v[1:2], v[48:49]
	v_mul_f64 v[16:17], v[16:17], v[32:33]
	v_fma_f64 v[22:23], v[22:23], v[1:2], v[3:4]
	ds_load_b128 v[1:4], v54 offset:3840
	v_div_fixup_f64 v[38:39], v[50:51], v[38:39], 1.0
	v_div_fixup_f64 v[40:41], v[42:43], v[40:41], 1.0
	v_fma_f64 v[32:33], v[32:33], v[14:15], v[52:53]
	v_fma_f64 v[44:45], v[30:31], v[14:15], v[16:17]
	s_delay_alu instid0(VALU_DEP_4)
	v_mul_f64 v[42:43], v[38:39], v[24:25]
	v_add_nc_u32_e32 v24, 0xffffff00, v54
	v_mul_f64 v[38:39], v[38:39], v[22:23]
	ds_load_b128 v[14:17], v24
	v_mul_f64 v[46:47], v[40:41], v[32:33]
	ds_load_b128 v[22:25], v56 offset:4096
	ds_load_b128 v[30:33], v56 offset:2048
	v_mul_f64 v[40:41], v[40:41], v[44:45]
	s_waitcnt lgkmcnt(0)
	s_barrier
	buffer_gl0_inv
	v_mul_f64 v[48:49], v[42:43], -v[9:10]
	v_mul_f64 v[50:51], v[42:43], v[7:8]
	v_mul_f64 v[52:53], v[42:43], -v[3:4]
	v_mul_f64 v[54:55], v[42:43], v[1:2]
	;; [unrolled: 2-line block ×4, first 2 shown]
	v_fma_f64 v[7:8], v[7:8], v[38:39], v[48:49]
	v_fma_f64 v[9:10], v[9:10], v[38:39], v[50:51]
	;; [unrolled: 1-line block ×4, first 2 shown]
	v_mul_f64 v[48:49], v[42:43], v[16:17]
	v_mul_f64 v[42:43], v[42:43], -v[14:15]
	v_mul_f64 v[50:51], v[46:47], v[32:33]
	v_fma_f64 v[18:19], v[18:19], v[40:41], v[44:45]
	v_fma_f64 v[20:21], v[20:21], v[40:41], v[56:57]
	;; [unrolled: 1-line block ×4, first 2 shown]
	v_add_f64 v[26:27], v[26:27], -v[7:8]
	v_add_f64 v[9:10], v[28:29], -v[9:10]
	;; [unrolled: 1-line block ×4, first 2 shown]
	v_mul_f64 v[36:37], v[46:47], -v[30:31]
	v_fma_f64 v[1:2], -v[14:15], v[38:39], v[48:49]
	v_fma_f64 v[3:4], -v[16:17], v[38:39], v[42:43]
	;; [unrolled: 1-line block ×3, first 2 shown]
	v_add_f64 v[14:15], v[26:27], -v[18:19]
	v_add_f64 v[16:17], v[9:10], -v[20:21]
	;; [unrolled: 1-line block ×4, first 2 shown]
	v_fma_f64 v[9:10], -v[32:33], v[40:41], v[36:37]
	ds_store_b128 v6, v[14:17]
	ds_store_b128 v13, v[1:4]
	ds_store_b128 v13, v[18:21] offset:4096
	ds_store_b128 v5, v[7:10]
	s_waitcnt lgkmcnt(0)
	s_barrier
	buffer_gl0_inv
	v_cmpx_gt_u32_e32 32, v0
	s_cbranch_execz .LBB76_14
; %bb.9:
	v_or_b32_e32 v7, 32, v0
	v_or_b32_e32 v8, 0x1000, v13
	s_mov_b32 s1, exec_lo
                                        ; implicit-def: $vgpr3_vgpr4
	s_delay_alu instid0(VALU_DEP_2)
	v_cmpx_le_i32_e64 s3, v7
	s_xor_b32 s1, exec_lo, s1
	s_cbranch_execz .LBB76_11
; %bb.10:
	ds_load_b128 v[1:4], v6
	ds_load_b128 v[5:8], v8
	s_waitcnt lgkmcnt(1)
	v_mul_f64 v[9:10], v[3:4], v[3:4]
	s_delay_alu instid0(VALU_DEP_1) | instskip(NEXT) | instid1(VALU_DEP_1)
	v_fma_f64 v[9:10], v[1:2], v[1:2], v[9:10]
	v_div_scale_f64 v[13:14], null, v[9:10], v[9:10], 1.0
	v_div_scale_f64 v[19:20], vcc_lo, 1.0, v[9:10], 1.0
	s_delay_alu instid0(VALU_DEP_2) | instskip(SKIP_2) | instid1(VALU_DEP_1)
	v_rcp_f64_e32 v[15:16], v[13:14]
	s_waitcnt_depctr 0xfff
	v_fma_f64 v[17:18], -v[13:14], v[15:16], 1.0
	v_fma_f64 v[15:16], v[15:16], v[17:18], v[15:16]
	s_delay_alu instid0(VALU_DEP_1) | instskip(NEXT) | instid1(VALU_DEP_1)
	v_fma_f64 v[17:18], -v[13:14], v[15:16], 1.0
	v_fma_f64 v[15:16], v[15:16], v[17:18], v[15:16]
	s_delay_alu instid0(VALU_DEP_1) | instskip(NEXT) | instid1(VALU_DEP_1)
	v_mul_f64 v[17:18], v[19:20], v[15:16]
	v_fma_f64 v[13:14], -v[13:14], v[17:18], v[19:20]
	s_waitcnt lgkmcnt(0)
	v_mul_f64 v[19:20], v[3:4], v[7:8]
	v_mul_f64 v[3:4], v[3:4], -v[5:6]
	s_delay_alu instid0(VALU_DEP_3) | instskip(NEXT) | instid1(VALU_DEP_3)
	v_div_fmas_f64 v[13:14], v[13:14], v[15:16], v[17:18]
	v_fma_f64 v[5:6], v[5:6], v[1:2], v[19:20]
	s_delay_alu instid0(VALU_DEP_3) | instskip(SKIP_1) | instid1(VALU_DEP_4)
	v_fma_f64 v[3:4], v[7:8], v[1:2], v[3:4]
	v_mov_b32_e32 v7, v0
                                        ; implicit-def: $vgpr8
	v_div_fixup_f64 v[9:10], v[13:14], v[9:10], 1.0
                                        ; implicit-def: $vgpr13
	s_delay_alu instid0(VALU_DEP_1) | instskip(NEXT) | instid1(VALU_DEP_4)
	v_mul_f64 v[1:2], v[9:10], v[5:6]
	v_mul_f64 v[3:4], v[9:10], v[3:4]
                                        ; implicit-def: $vgpr6
                                        ; implicit-def: $vgpr5
.LBB76_11:
	s_and_not1_saveexec_b32 s1, s1
	s_cbranch_execz .LBB76_13
; %bb.12:
	ds_load_b128 v[1:4], v6
	ds_load_b128 v[14:17], v6 offset:512
	ds_load_b128 v[18:21], v13 offset:512
	ds_load_b128 v[22:25], v5
	s_waitcnt lgkmcnt(2)
	v_mul_f64 v[5:6], v[3:4], v[14:15]
	v_mul_f64 v[26:27], v[3:4], -v[16:17]
	s_waitcnt lgkmcnt(0)
	v_mul_f64 v[9:10], v[20:21], v[22:23]
	v_mul_f64 v[28:29], v[20:21], -v[24:25]
	s_delay_alu instid0(VALU_DEP_4) | instskip(NEXT) | instid1(VALU_DEP_4)
	v_fma_f64 v[5:6], v[16:17], v[1:2], v[5:6]
	v_fma_f64 v[26:27], v[14:15], v[1:2], v[26:27]
	s_delay_alu instid0(VALU_DEP_4) | instskip(NEXT) | instid1(VALU_DEP_4)
	v_fma_f64 v[9:10], v[24:25], v[18:19], v[9:10]
	v_fma_f64 v[28:29], v[22:23], v[18:19], v[28:29]
	s_delay_alu instid0(VALU_DEP_2) | instskip(NEXT) | instid1(VALU_DEP_2)
	v_add_f64 v[5:6], v[5:6], -v[9:10]
	v_add_f64 v[9:10], v[26:27], -v[28:29]
	s_delay_alu instid0(VALU_DEP_2) | instskip(NEXT) | instid1(VALU_DEP_1)
	v_mul_f64 v[26:27], v[5:6], v[5:6]
	v_fma_f64 v[34:35], v[9:10], v[9:10], v[26:27]
	s_delay_alu instid0(VALU_DEP_1) | instskip(SKIP_1) | instid1(VALU_DEP_2)
	v_div_scale_f64 v[26:27], null, v[34:35], v[34:35], 1.0
	v_div_scale_f64 v[32:33], vcc_lo, 1.0, v[34:35], 1.0
	v_rcp_f64_e32 v[28:29], v[26:27]
	s_waitcnt_depctr 0xfff
	v_fma_f64 v[30:31], -v[26:27], v[28:29], 1.0
	s_delay_alu instid0(VALU_DEP_1) | instskip(NEXT) | instid1(VALU_DEP_1)
	v_fma_f64 v[28:29], v[28:29], v[30:31], v[28:29]
	v_fma_f64 v[30:31], -v[26:27], v[28:29], 1.0
	s_delay_alu instid0(VALU_DEP_1) | instskip(NEXT) | instid1(VALU_DEP_1)
	v_fma_f64 v[36:37], v[28:29], v[30:31], v[28:29]
	v_mul_f64 v[38:39], v[32:33], v[36:37]
	s_delay_alu instid0(VALU_DEP_1)
	v_fma_f64 v[40:41], -v[26:27], v[38:39], v[32:33]
	ds_load_b128 v[26:29], v8
	ds_load_b128 v[30:33], v8 offset:512
	s_waitcnt lgkmcnt(1)
	v_mul_f64 v[42:43], v[28:29], -v[16:17]
	v_mul_f64 v[44:45], v[14:15], v[28:29]
	s_waitcnt lgkmcnt(0)
	v_mul_f64 v[46:47], v[32:33], -v[24:25]
	v_mul_f64 v[48:49], v[22:23], v[32:33]
	v_mul_f64 v[50:51], v[3:4], -v[32:33]
	v_mul_f64 v[3:4], v[3:4], v[30:31]
	v_div_fmas_f64 v[36:37], v[40:41], v[36:37], v[38:39]
	v_mul_f64 v[38:39], v[20:21], v[26:27]
	v_mul_f64 v[20:21], v[20:21], -v[28:29]
	v_fma_f64 v[40:41], v[9:10], 0, -v[5:6]
	v_fma_f64 v[5:6], v[5:6], 0, v[9:10]
	v_fma_f64 v[14:15], v[14:15], v[26:27], v[42:43]
	;; [unrolled: 1-line block ×7, first 2 shown]
	v_div_fixup_f64 v[34:35], v[36:37], v[34:35], 1.0
	v_fma_f64 v[3:4], v[28:29], v[18:19], v[38:39]
	v_fma_f64 v[18:19], v[26:27], v[18:19], v[20:21]
	v_add_f64 v[14:15], v[14:15], -v[22:23]
	v_add_f64 v[16:17], v[16:17], -v[24:25]
	v_mul_f64 v[8:9], v[40:41], v[34:35]
	v_add_f64 v[3:4], v[1:2], -v[3:4]
	v_add_f64 v[1:2], v[30:31], -v[18:19]
	v_mul_f64 v[5:6], v[5:6], v[34:35]
	s_delay_alu instid0(VALU_DEP_4) | instskip(SKIP_3) | instid1(VALU_DEP_4)
	v_mul_f64 v[18:19], v[8:9], -v[16:17]
	v_mul_f64 v[20:21], v[8:9], v[14:15]
	v_mul_f64 v[22:23], v[8:9], -v[3:4]
	v_mul_f64 v[8:9], v[8:9], v[1:2]
	v_fma_f64 v[14:15], v[14:15], v[5:6], v[18:19]
	s_delay_alu instid0(VALU_DEP_4) | instskip(NEXT) | instid1(VALU_DEP_4)
	v_fma_f64 v[16:17], v[16:17], v[5:6], v[20:21]
	v_fma_f64 v[1:2], v[1:2], v[5:6], v[22:23]
	s_delay_alu instid0(VALU_DEP_4)
	v_fma_f64 v[3:4], v[3:4], v[5:6], v[8:9]
	ds_store_b128 v13, v[14:17] offset:3072
.LBB76_13:
	s_or_b32 exec_lo, exec_lo, s1
	v_lshlrev_b32_e32 v5, 4, v7
	ds_store_b128 v5, v[1:4] offset:3072
.LBB76_14:
	s_or_b32 exec_lo, exec_lo, s0
	s_waitcnt lgkmcnt(0)
	s_barrier
	buffer_gl0_inv
	s_and_saveexec_b32 s0, s2
	s_cbranch_execz .LBB76_16
; %bb.15:
	v_lshl_or_b32 v0, v0, 4, 0xc00
	v_lshlrev_b64 v[4:5], 4, v[11:12]
	ds_load_2addr_b64 v[0:3], v0 offset1:1
	v_add_co_u32 v4, vcc_lo, s4, v4
	v_add_co_ci_u32_e32 v5, vcc_lo, s5, v5, vcc_lo
	s_waitcnt lgkmcnt(0)
	global_store_b128 v[4:5], v[0:3], off
.LBB76_16:
	s_nop 0
	s_sendmsg sendmsg(MSG_DEALLOC_VGPRS)
	s_endpgm
	.section	.rodata,"a",@progbits
	.p2align	6, 0x0
	.amdhsa_kernel _ZN9rocsparseL44gtsv_nopivot_strided_batch_pcr_shared_kernelILj64E21rocsparse_complex_numIdEEEviiiPKT0_S5_S5_PS3_
		.amdhsa_group_segment_fixed_size 5120
		.amdhsa_private_segment_fixed_size 0
		.amdhsa_kernarg_size 48
		.amdhsa_user_sgpr_count 15
		.amdhsa_user_sgpr_dispatch_ptr 0
		.amdhsa_user_sgpr_queue_ptr 0
		.amdhsa_user_sgpr_kernarg_segment_ptr 1
		.amdhsa_user_sgpr_dispatch_id 0
		.amdhsa_user_sgpr_private_segment_size 0
		.amdhsa_wavefront_size32 1
		.amdhsa_uses_dynamic_stack 0
		.amdhsa_enable_private_segment 0
		.amdhsa_system_sgpr_workgroup_id_x 1
		.amdhsa_system_sgpr_workgroup_id_y 0
		.amdhsa_system_sgpr_workgroup_id_z 0
		.amdhsa_system_sgpr_workgroup_info 0
		.amdhsa_system_vgpr_workitem_id 0
		.amdhsa_next_free_vgpr 62
		.amdhsa_next_free_sgpr 16
		.amdhsa_reserve_vcc 1
		.amdhsa_float_round_mode_32 0
		.amdhsa_float_round_mode_16_64 0
		.amdhsa_float_denorm_mode_32 3
		.amdhsa_float_denorm_mode_16_64 3
		.amdhsa_dx10_clamp 1
		.amdhsa_ieee_mode 1
		.amdhsa_fp16_overflow 0
		.amdhsa_workgroup_processor_mode 1
		.amdhsa_memory_ordered 1
		.amdhsa_forward_progress 0
		.amdhsa_shared_vgpr_count 0
		.amdhsa_exception_fp_ieee_invalid_op 0
		.amdhsa_exception_fp_denorm_src 0
		.amdhsa_exception_fp_ieee_div_zero 0
		.amdhsa_exception_fp_ieee_overflow 0
		.amdhsa_exception_fp_ieee_underflow 0
		.amdhsa_exception_fp_ieee_inexact 0
		.amdhsa_exception_int_div_zero 0
	.end_amdhsa_kernel
	.section	.text._ZN9rocsparseL44gtsv_nopivot_strided_batch_pcr_shared_kernelILj64E21rocsparse_complex_numIdEEEviiiPKT0_S5_S5_PS3_,"axG",@progbits,_ZN9rocsparseL44gtsv_nopivot_strided_batch_pcr_shared_kernelILj64E21rocsparse_complex_numIdEEEviiiPKT0_S5_S5_PS3_,comdat
.Lfunc_end76:
	.size	_ZN9rocsparseL44gtsv_nopivot_strided_batch_pcr_shared_kernelILj64E21rocsparse_complex_numIdEEEviiiPKT0_S5_S5_PS3_, .Lfunc_end76-_ZN9rocsparseL44gtsv_nopivot_strided_batch_pcr_shared_kernelILj64E21rocsparse_complex_numIdEEEviiiPKT0_S5_S5_PS3_
                                        ; -- End function
	.section	.AMDGPU.csdata,"",@progbits
; Kernel info:
; codeLenInByte = 5388
; NumSgprs: 18
; NumVgprs: 62
; ScratchSize: 0
; MemoryBound: 1
; FloatMode: 240
; IeeeMode: 1
; LDSByteSize: 5120 bytes/workgroup (compile time only)
; SGPRBlocks: 2
; VGPRBlocks: 7
; NumSGPRsForWavesPerEU: 18
; NumVGPRsForWavesPerEU: 62
; Occupancy: 13
; WaveLimiterHint : 0
; COMPUTE_PGM_RSRC2:SCRATCH_EN: 0
; COMPUTE_PGM_RSRC2:USER_SGPR: 15
; COMPUTE_PGM_RSRC2:TRAP_HANDLER: 0
; COMPUTE_PGM_RSRC2:TGID_X_EN: 1
; COMPUTE_PGM_RSRC2:TGID_Y_EN: 0
; COMPUTE_PGM_RSRC2:TGID_Z_EN: 0
; COMPUTE_PGM_RSRC2:TIDIG_COMP_CNT: 0
	.section	.text._ZN9rocsparseL44gtsv_nopivot_strided_batch_pcr_shared_kernelILj128E21rocsparse_complex_numIdEEEviiiPKT0_S5_S5_PS3_,"axG",@progbits,_ZN9rocsparseL44gtsv_nopivot_strided_batch_pcr_shared_kernelILj128E21rocsparse_complex_numIdEEEviiiPKT0_S5_S5_PS3_,comdat
	.globl	_ZN9rocsparseL44gtsv_nopivot_strided_batch_pcr_shared_kernelILj128E21rocsparse_complex_numIdEEEviiiPKT0_S5_S5_PS3_ ; -- Begin function _ZN9rocsparseL44gtsv_nopivot_strided_batch_pcr_shared_kernelILj128E21rocsparse_complex_numIdEEEviiiPKT0_S5_S5_PS3_
	.p2align	8
	.type	_ZN9rocsparseL44gtsv_nopivot_strided_batch_pcr_shared_kernelILj128E21rocsparse_complex_numIdEEEviiiPKT0_S5_S5_PS3_,@function
_ZN9rocsparseL44gtsv_nopivot_strided_batch_pcr_shared_kernelILj128E21rocsparse_complex_numIdEEEviiiPKT0_S5_S5_PS3_: ; @_ZN9rocsparseL44gtsv_nopivot_strided_batch_pcr_shared_kernelILj128E21rocsparse_complex_numIdEEEviiiPKT0_S5_S5_PS3_
; %bb.0:
	s_clause 0x1
	s_load_b32 s2, s[0:1], 0x8
	s_load_b32 s3, s[0:1], 0x0
	s_waitcnt lgkmcnt(0)
	v_mad_u64_u32 v[13:14], null, s15, s2, v[0:1]
	v_mov_b32_e32 v1, 0
	v_mov_b32_e32 v2, 0
	v_cmp_gt_i32_e64 s2, s3, v0
	s_delay_alu instid0(VALU_DEP_2) | instskip(SKIP_2) | instid1(VALU_DEP_4)
	v_dual_mov_b32 v6, v2 :: v_dual_mov_b32 v5, v1
	v_ashrrev_i32_e32 v14, 31, v13
	v_dual_mov_b32 v8, v2 :: v_dual_mov_b32 v7, v1
	s_and_saveexec_b32 s4, s2
	s_cbranch_execz .LBB77_2
; %bb.1:
	s_load_b64 s[6:7], s[0:1], 0x10
	v_lshlrev_b64 v[3:4], 4, v[13:14]
	s_waitcnt lgkmcnt(0)
	s_delay_alu instid0(VALU_DEP_1) | instskip(NEXT) | instid1(VALU_DEP_2)
	v_add_co_u32 v3, vcc_lo, s6, v3
	v_add_co_ci_u32_e32 v4, vcc_lo, s7, v4, vcc_lo
	global_load_b128 v[5:8], v[3:4], off
.LBB77_2:
	s_or_b32 exec_lo, exec_lo, s4
	v_dual_mov_b32 v4, v2 :: v_dual_lshlrev_b32 v15, 4, v0
	v_mov_b32_e32 v3, v1
	s_waitcnt vmcnt(0)
	ds_store_b128 v15, v[5:8]
	s_and_saveexec_b32 s4, s2
	s_cbranch_execz .LBB77_4
; %bb.3:
	s_load_b64 s[6:7], s[0:1], 0x18
	v_lshlrev_b64 v[1:2], 4, v[13:14]
	s_waitcnt lgkmcnt(0)
	s_delay_alu instid0(VALU_DEP_1) | instskip(NEXT) | instid1(VALU_DEP_2)
	v_add_co_u32 v1, vcc_lo, s6, v1
	v_add_co_ci_u32_e32 v2, vcc_lo, s7, v2, vcc_lo
	global_load_b128 v[1:4], v[1:2], off
.LBB77_4:
	s_or_b32 exec_lo, exec_lo, s4
	s_load_b64 s[4:5], s[0:1], 0x28
	v_mov_b32_e32 v5, 0
	v_mov_b32_e32 v6, 0
	s_waitcnt vmcnt(0)
	ds_store_b128 v15, v[1:4] offset:2048
	v_dual_mov_b32 v10, v6 :: v_dual_mov_b32 v9, v5
	v_dual_mov_b32 v12, v6 :: v_dual_mov_b32 v11, v5
	s_and_saveexec_b32 s6, s2
	s_cbranch_execz .LBB77_6
; %bb.5:
	s_load_b64 s[0:1], s[0:1], 0x20
	v_lshlrev_b64 v[1:2], 4, v[13:14]
	s_waitcnt lgkmcnt(0)
	s_delay_alu instid0(VALU_DEP_1) | instskip(NEXT) | instid1(VALU_DEP_2)
	v_add_co_u32 v1, vcc_lo, s0, v1
	v_add_co_ci_u32_e32 v2, vcc_lo, s1, v2, vcc_lo
	global_load_b128 v[9:12], v[1:2], off
.LBB77_6:
	s_or_b32 exec_lo, exec_lo, s6
	v_dual_mov_b32 v8, v6 :: v_dual_mov_b32 v7, v5
	s_waitcnt vmcnt(0)
	ds_store_b128 v15, v[9:12] offset:4096
	s_and_saveexec_b32 s0, s2
	s_cbranch_execz .LBB77_8
; %bb.7:
	v_lshlrev_b64 v[1:2], 4, v[13:14]
	s_waitcnt lgkmcnt(0)
	s_delay_alu instid0(VALU_DEP_1) | instskip(NEXT) | instid1(VALU_DEP_2)
	v_add_co_u32 v1, vcc_lo, s4, v1
	v_add_co_ci_u32_e32 v2, vcc_lo, s5, v2, vcc_lo
	global_load_b128 v[5:8], v[1:2], off
.LBB77_8:
	s_or_b32 exec_lo, exec_lo, s0
	v_or_b32_e32 v11, 0x800, v15
	v_or_b32_e32 v10, 0x1000, v15
	;; [unrolled: 1-line block ×3, first 2 shown]
	s_add_i32 s1, s3, -1
	s_mov_b32 s6, 1
	s_mov_b32 s7, 6
	s_waitcnt vmcnt(0)
	ds_store_b128 v15, v[5:8] offset:8192
	s_waitcnt lgkmcnt(0)
	s_barrier
	buffer_gl0_inv
.LBB77_9:                               ; =>This Inner Loop Header: Depth=1
	v_subrev_nc_u32_e32 v1, s6, v0
	v_add_nc_u32_e32 v16, s6, v0
	s_add_i32 s7, s7, -1
	s_lshl_b32 s6, s6, 1
	s_cmp_eq_u32 s7, 0
	v_max_i32_e32 v1, 0, v1
	v_cmp_gt_i32_e32 vcc_lo, s3, v16
	s_delay_alu instid0(VALU_DEP_2)
	v_lshlrev_b32_e32 v12, 4, v1
	v_cndmask_b32_e32 v16, s1, v16, vcc_lo
	ds_load_b128 v[1:4], v12 offset:2048
	ds_load_b128 v[5:8], v12
	v_lshlrev_b32_e32 v58, 4, v16
	ds_load_b128 v[16:19], v58 offset:2048
	ds_load_b128 v[20:23], v58
	s_waitcnt lgkmcnt(3)
	v_mul_f64 v[24:25], v[3:4], v[3:4]
	s_waitcnt lgkmcnt(1)
	v_mul_f64 v[26:27], v[18:19], v[18:19]
	s_delay_alu instid0(VALU_DEP_2) | instskip(NEXT) | instid1(VALU_DEP_2)
	v_fma_f64 v[40:41], v[1:2], v[1:2], v[24:25]
	v_fma_f64 v[42:43], v[16:17], v[16:17], v[26:27]
	s_delay_alu instid0(VALU_DEP_2) | instskip(NEXT) | instid1(VALU_DEP_2)
	v_div_scale_f64 v[24:25], null, v[40:41], v[40:41], 1.0
	v_div_scale_f64 v[32:33], null, v[42:43], v[42:43], 1.0
	v_div_scale_f64 v[44:45], s0, 1.0, v[42:43], 1.0
	s_delay_alu instid0(VALU_DEP_3) | instskip(NEXT) | instid1(VALU_DEP_2)
	v_rcp_f64_e32 v[26:27], v[24:25]
	v_rcp_f64_e32 v[28:29], v[32:33]
	s_waitcnt_depctr 0xfff
	v_fma_f64 v[30:31], -v[24:25], v[26:27], 1.0
	v_fma_f64 v[34:35], -v[32:33], v[28:29], 1.0
	s_delay_alu instid0(VALU_DEP_2) | instskip(NEXT) | instid1(VALU_DEP_2)
	v_fma_f64 v[26:27], v[26:27], v[30:31], v[26:27]
	v_fma_f64 v[28:29], v[28:29], v[34:35], v[28:29]
	v_div_scale_f64 v[34:35], vcc_lo, 1.0, v[40:41], 1.0
	s_delay_alu instid0(VALU_DEP_3) | instskip(NEXT) | instid1(VALU_DEP_3)
	v_fma_f64 v[30:31], -v[24:25], v[26:27], 1.0
	v_fma_f64 v[36:37], -v[32:33], v[28:29], 1.0
	s_delay_alu instid0(VALU_DEP_2) | instskip(NEXT) | instid1(VALU_DEP_2)
	v_fma_f64 v[38:39], v[26:27], v[30:31], v[26:27]
	v_fma_f64 v[46:47], v[28:29], v[36:37], v[28:29]
	s_delay_alu instid0(VALU_DEP_2) | instskip(NEXT) | instid1(VALU_DEP_2)
	v_mul_f64 v[36:37], v[34:35], v[38:39]
	v_mul_f64 v[48:49], v[44:45], v[46:47]
	s_delay_alu instid0(VALU_DEP_2)
	v_fma_f64 v[34:35], -v[24:25], v[36:37], v[34:35]
	ds_load_b128 v[24:27], v15
	ds_load_b128 v[28:31], v11
	v_fma_f64 v[44:45], -v[32:33], v[48:49], v[44:45]
	s_waitcnt lgkmcnt(1)
	v_mul_f64 v[50:51], v[3:4], -v[24:25]
	v_mul_f64 v[3:4], v[3:4], v[26:27]
	v_div_fmas_f64 v[52:53], v[34:35], v[38:39], v[36:37]
	ds_load_b128 v[32:35], v10
	ds_load_b128 v[36:39], v9
	s_mov_b32 vcc_lo, s0
	v_div_fmas_f64 v[44:45], v[44:45], v[46:47], v[48:49]
	s_waitcnt lgkmcnt(1)
	v_mul_f64 v[54:55], v[18:19], -v[32:33]
	v_fma_f64 v[26:27], v[26:27], v[1:2], v[50:51]
	v_mul_f64 v[18:19], v[18:19], v[34:35]
	v_fma_f64 v[46:47], v[24:25], v[1:2], v[3:4]
	v_div_fixup_f64 v[40:41], v[52:53], v[40:41], 1.0
	v_div_fixup_f64 v[42:43], v[44:45], v[42:43], 1.0
	v_fma_f64 v[34:35], v[34:35], v[16:17], v[54:55]
	v_fma_f64 v[48:49], v[32:33], v[16:17], v[18:19]
	s_delay_alu instid0(VALU_DEP_4)
	v_mul_f64 v[44:45], v[40:41], v[26:27]
	ds_load_b128 v[1:4], v12 offset:4096
	ds_load_b128 v[24:27], v12 offset:8192
	v_mul_f64 v[40:41], v[40:41], v[46:47]
	v_mul_f64 v[46:47], v[42:43], v[34:35]
	ds_load_b128 v[16:19], v58 offset:8192
	ds_load_b128 v[32:35], v58 offset:4096
	v_mul_f64 v[42:43], v[42:43], v[48:49]
	s_waitcnt lgkmcnt(0)
	s_barrier
	buffer_gl0_inv
	v_mul_f64 v[50:51], v[44:45], -v[3:4]
	v_mul_f64 v[52:53], v[44:45], v[1:2]
	v_mul_f64 v[54:55], v[44:45], -v[26:27]
	v_mul_f64 v[56:57], v[44:45], v[24:25]
	;; [unrolled: 2-line block ×4, first 2 shown]
	v_fma_f64 v[1:2], v[1:2], v[40:41], v[50:51]
	v_fma_f64 v[3:4], v[3:4], v[40:41], v[52:53]
	;; [unrolled: 1-line block ×4, first 2 shown]
	v_mul_f64 v[50:51], v[44:45], v[7:8]
	v_mul_f64 v[44:45], v[44:45], -v[5:6]
	v_mul_f64 v[52:53], v[46:47], v[34:35]
	v_mul_f64 v[46:47], v[46:47], -v[32:33]
	v_fma_f64 v[20:21], v[20:21], v[42:43], v[48:49]
	v_fma_f64 v[22:23], v[22:23], v[42:43], v[58:59]
	;; [unrolled: 1-line block ×4, first 2 shown]
	v_add_f64 v[16:17], v[28:29], -v[1:2]
	v_add_f64 v[18:19], v[30:31], -v[3:4]
	;; [unrolled: 1-line block ×4, first 2 shown]
	v_fma_f64 v[1:2], -v[5:6], v[40:41], v[50:51]
	v_fma_f64 v[3:4], -v[7:8], v[40:41], v[44:45]
	;; [unrolled: 1-line block ×4, first 2 shown]
	v_add_f64 v[16:17], v[16:17], -v[20:21]
	v_add_f64 v[18:19], v[18:19], -v[22:23]
	;; [unrolled: 1-line block ×4, first 2 shown]
	ds_store_b128 v11, v[16:19]
	ds_store_b128 v15, v[1:4]
	ds_store_b128 v9, v[20:23]
	ds_store_b128 v10, v[5:8]
	s_waitcnt lgkmcnt(0)
	s_barrier
	buffer_gl0_inv
	s_cbranch_scc0 .LBB77_9
; %bb.10:
	s_mov_b32 s0, exec_lo
	v_cmpx_gt_u32_e32 64, v0
	s_cbranch_execz .LBB77_16
; %bb.11:
	v_or_b32_e32 v5, 64, v0
	s_mov_b32 s1, exec_lo
                                        ; implicit-def: $vgpr3_vgpr4
	s_delay_alu instid0(VALU_DEP_1)
	v_cmpx_le_i32_e64 s3, v5
	s_xor_b32 s1, exec_lo, s1
	s_cbranch_execz .LBB77_13
; %bb.12:
	ds_load_b128 v[1:4], v11
	ds_load_b128 v[5:8], v9
	s_waitcnt lgkmcnt(1)
	v_mul_f64 v[9:10], v[3:4], v[3:4]
	s_delay_alu instid0(VALU_DEP_1) | instskip(NEXT) | instid1(VALU_DEP_1)
	v_fma_f64 v[9:10], v[1:2], v[1:2], v[9:10]
	v_div_scale_f64 v[11:12], null, v[9:10], v[9:10], 1.0
	v_div_scale_f64 v[19:20], vcc_lo, 1.0, v[9:10], 1.0
	s_delay_alu instid0(VALU_DEP_2) | instskip(SKIP_2) | instid1(VALU_DEP_1)
	v_rcp_f64_e32 v[15:16], v[11:12]
	s_waitcnt_depctr 0xfff
	v_fma_f64 v[17:18], -v[11:12], v[15:16], 1.0
	v_fma_f64 v[15:16], v[15:16], v[17:18], v[15:16]
	s_delay_alu instid0(VALU_DEP_1) | instskip(NEXT) | instid1(VALU_DEP_1)
	v_fma_f64 v[17:18], -v[11:12], v[15:16], 1.0
	v_fma_f64 v[15:16], v[15:16], v[17:18], v[15:16]
	s_delay_alu instid0(VALU_DEP_1) | instskip(NEXT) | instid1(VALU_DEP_1)
	v_mul_f64 v[17:18], v[19:20], v[15:16]
	v_fma_f64 v[11:12], -v[11:12], v[17:18], v[19:20]
	s_waitcnt lgkmcnt(0)
	v_mul_f64 v[19:20], v[3:4], v[7:8]
	v_mul_f64 v[3:4], v[3:4], -v[5:6]
	s_delay_alu instid0(VALU_DEP_3) | instskip(NEXT) | instid1(VALU_DEP_3)
	v_div_fmas_f64 v[11:12], v[11:12], v[15:16], v[17:18]
	v_fma_f64 v[5:6], v[5:6], v[1:2], v[19:20]
	s_delay_alu instid0(VALU_DEP_3) | instskip(NEXT) | instid1(VALU_DEP_3)
	v_fma_f64 v[3:4], v[7:8], v[1:2], v[3:4]
                                        ; implicit-def: $vgpr15
	v_div_fixup_f64 v[9:10], v[11:12], v[9:10], 1.0
                                        ; implicit-def: $vgpr11
	s_delay_alu instid0(VALU_DEP_1) | instskip(NEXT) | instid1(VALU_DEP_3)
	v_mul_f64 v[1:2], v[9:10], v[5:6]
	v_mul_f64 v[3:4], v[9:10], v[3:4]
                                        ; implicit-def: $vgpr10
                                        ; implicit-def: $vgpr9
                                        ; implicit-def: $vgpr5
.LBB77_13:
	s_or_saveexec_b32 s1, s1
	v_mov_b32_e32 v6, v0
	s_xor_b32 exec_lo, exec_lo, s1
	s_cbranch_execz .LBB77_15
; %bb.14:
	ds_load_b128 v[1:4], v11
	ds_load_b128 v[16:19], v11 offset:1024
	ds_load_b128 v[20:23], v15 offset:1024
	ds_load_b128 v[24:27], v10
	s_waitcnt lgkmcnt(2)
	v_mul_f64 v[6:7], v[3:4], v[16:17]
	v_mul_f64 v[28:29], v[3:4], -v[18:19]
	s_waitcnt lgkmcnt(0)
	v_mul_f64 v[10:11], v[22:23], v[24:25]
	v_mul_f64 v[30:31], v[22:23], -v[26:27]
	s_delay_alu instid0(VALU_DEP_4) | instskip(NEXT) | instid1(VALU_DEP_4)
	v_fma_f64 v[6:7], v[18:19], v[1:2], v[6:7]
	v_fma_f64 v[28:29], v[16:17], v[1:2], v[28:29]
	s_delay_alu instid0(VALU_DEP_4) | instskip(NEXT) | instid1(VALU_DEP_4)
	v_fma_f64 v[10:11], v[26:27], v[20:21], v[10:11]
	v_fma_f64 v[30:31], v[24:25], v[20:21], v[30:31]
	s_delay_alu instid0(VALU_DEP_2) | instskip(NEXT) | instid1(VALU_DEP_2)
	v_add_f64 v[10:11], v[6:7], -v[10:11]
	v_add_f64 v[32:33], v[28:29], -v[30:31]
	s_delay_alu instid0(VALU_DEP_2) | instskip(NEXT) | instid1(VALU_DEP_1)
	v_mul_f64 v[6:7], v[10:11], v[10:11]
	v_fma_f64 v[34:35], v[32:33], v[32:33], v[6:7]
	s_delay_alu instid0(VALU_DEP_1) | instskip(SKIP_1) | instid1(VALU_DEP_2)
	v_div_scale_f64 v[6:7], null, v[34:35], v[34:35], 1.0
	v_div_scale_f64 v[36:37], vcc_lo, 1.0, v[34:35], 1.0
	v_rcp_f64_e32 v[28:29], v[6:7]
	s_waitcnt_depctr 0xfff
	v_fma_f64 v[30:31], -v[6:7], v[28:29], 1.0
	s_delay_alu instid0(VALU_DEP_1) | instskip(NEXT) | instid1(VALU_DEP_1)
	v_fma_f64 v[28:29], v[28:29], v[30:31], v[28:29]
	v_fma_f64 v[30:31], -v[6:7], v[28:29], 1.0
	s_delay_alu instid0(VALU_DEP_1) | instskip(NEXT) | instid1(VALU_DEP_1)
	v_fma_f64 v[38:39], v[28:29], v[30:31], v[28:29]
	v_mul_f64 v[40:41], v[36:37], v[38:39]
	s_delay_alu instid0(VALU_DEP_1)
	v_fma_f64 v[36:37], -v[6:7], v[40:41], v[36:37]
	ds_load_b128 v[28:31], v9
	ds_load_b128 v[6:9], v9 offset:1024
	s_waitcnt lgkmcnt(1)
	v_mul_f64 v[42:43], v[30:31], -v[18:19]
	v_mul_f64 v[44:45], v[16:17], v[30:31]
	s_waitcnt lgkmcnt(0)
	v_mul_f64 v[46:47], v[8:9], -v[26:27]
	v_mul_f64 v[48:49], v[24:25], v[8:9]
	v_mul_f64 v[50:51], v[3:4], -v[8:9]
	v_mul_f64 v[3:4], v[3:4], v[6:7]
	v_div_fmas_f64 v[36:37], v[36:37], v[38:39], v[40:41]
	v_mul_f64 v[38:39], v[22:23], v[28:29]
	v_mul_f64 v[22:23], v[22:23], -v[30:31]
	v_fma_f64 v[40:41], v[32:33], 0, -v[10:11]
	v_fma_f64 v[10:11], v[10:11], 0, v[32:33]
	v_fma_f64 v[16:17], v[16:17], v[28:29], v[42:43]
	;; [unrolled: 1-line block ×7, first 2 shown]
	v_div_fixup_f64 v[34:35], v[36:37], v[34:35], 1.0
	v_fma_f64 v[3:4], v[30:31], v[20:21], v[38:39]
	v_fma_f64 v[8:9], v[28:29], v[20:21], v[22:23]
	v_add_f64 v[16:17], v[16:17], -v[24:25]
	v_add_f64 v[18:19], v[18:19], -v[26:27]
	v_mul_f64 v[20:21], v[40:41], v[34:35]
	v_add_f64 v[3:4], v[1:2], -v[3:4]
	v_add_f64 v[1:2], v[6:7], -v[8:9]
	v_mul_f64 v[11:12], v[10:11], v[34:35]
	s_delay_alu instid0(VALU_DEP_4) | instskip(SKIP_3) | instid1(VALU_DEP_4)
	v_mul_f64 v[6:7], v[20:21], -v[18:19]
	v_mul_f64 v[9:10], v[20:21], v[16:17]
	v_mul_f64 v[22:23], v[20:21], -v[3:4]
	v_mul_f64 v[20:21], v[20:21], v[1:2]
	v_fma_f64 v[7:8], v[16:17], v[11:12], v[6:7]
	s_delay_alu instid0(VALU_DEP_4) | instskip(NEXT) | instid1(VALU_DEP_4)
	v_fma_f64 v[9:10], v[18:19], v[11:12], v[9:10]
	v_fma_f64 v[1:2], v[1:2], v[11:12], v[22:23]
	s_delay_alu instid0(VALU_DEP_4)
	v_fma_f64 v[3:4], v[3:4], v[11:12], v[20:21]
	v_mov_b32_e32 v6, v5
	ds_store_b128 v15, v[7:10] offset:6144
.LBB77_15:
	s_or_b32 exec_lo, exec_lo, s1
	s_delay_alu instid0(VALU_DEP_1)
	v_lshlrev_b32_e32 v5, 4, v6
	ds_store_b128 v5, v[1:4] offset:6144
.LBB77_16:
	s_or_b32 exec_lo, exec_lo, s0
	s_waitcnt lgkmcnt(0)
	s_barrier
	buffer_gl0_inv
	s_and_saveexec_b32 s0, s2
	s_cbranch_execz .LBB77_18
; %bb.17:
	v_lshl_or_b32 v0, v0, 4, 0x1800
	v_lshlrev_b64 v[4:5], 4, v[13:14]
	ds_load_2addr_b64 v[0:3], v0 offset1:1
	v_add_co_u32 v4, vcc_lo, s4, v4
	v_add_co_ci_u32_e32 v5, vcc_lo, s5, v5, vcc_lo
	s_waitcnt lgkmcnt(0)
	global_store_b128 v[4:5], v[0:3], off
.LBB77_18:
	s_nop 0
	s_sendmsg sendmsg(MSG_DEALLOC_VGPRS)
	s_endpgm
	.section	.rodata,"a",@progbits
	.p2align	6, 0x0
	.amdhsa_kernel _ZN9rocsparseL44gtsv_nopivot_strided_batch_pcr_shared_kernelILj128E21rocsparse_complex_numIdEEEviiiPKT0_S5_S5_PS3_
		.amdhsa_group_segment_fixed_size 10240
		.amdhsa_private_segment_fixed_size 0
		.amdhsa_kernarg_size 48
		.amdhsa_user_sgpr_count 15
		.amdhsa_user_sgpr_dispatch_ptr 0
		.amdhsa_user_sgpr_queue_ptr 0
		.amdhsa_user_sgpr_kernarg_segment_ptr 1
		.amdhsa_user_sgpr_dispatch_id 0
		.amdhsa_user_sgpr_private_segment_size 0
		.amdhsa_wavefront_size32 1
		.amdhsa_uses_dynamic_stack 0
		.amdhsa_enable_private_segment 0
		.amdhsa_system_sgpr_workgroup_id_x 1
		.amdhsa_system_sgpr_workgroup_id_y 0
		.amdhsa_system_sgpr_workgroup_id_z 0
		.amdhsa_system_sgpr_workgroup_info 0
		.amdhsa_system_vgpr_workitem_id 0
		.amdhsa_next_free_vgpr 64
		.amdhsa_next_free_sgpr 16
		.amdhsa_reserve_vcc 1
		.amdhsa_float_round_mode_32 0
		.amdhsa_float_round_mode_16_64 0
		.amdhsa_float_denorm_mode_32 3
		.amdhsa_float_denorm_mode_16_64 3
		.amdhsa_dx10_clamp 1
		.amdhsa_ieee_mode 1
		.amdhsa_fp16_overflow 0
		.amdhsa_workgroup_processor_mode 1
		.amdhsa_memory_ordered 1
		.amdhsa_forward_progress 0
		.amdhsa_shared_vgpr_count 0
		.amdhsa_exception_fp_ieee_invalid_op 0
		.amdhsa_exception_fp_denorm_src 0
		.amdhsa_exception_fp_ieee_div_zero 0
		.amdhsa_exception_fp_ieee_overflow 0
		.amdhsa_exception_fp_ieee_underflow 0
		.amdhsa_exception_fp_ieee_inexact 0
		.amdhsa_exception_int_div_zero 0
	.end_amdhsa_kernel
	.section	.text._ZN9rocsparseL44gtsv_nopivot_strided_batch_pcr_shared_kernelILj128E21rocsparse_complex_numIdEEEviiiPKT0_S5_S5_PS3_,"axG",@progbits,_ZN9rocsparseL44gtsv_nopivot_strided_batch_pcr_shared_kernelILj128E21rocsparse_complex_numIdEEEviiiPKT0_S5_S5_PS3_,comdat
.Lfunc_end77:
	.size	_ZN9rocsparseL44gtsv_nopivot_strided_batch_pcr_shared_kernelILj128E21rocsparse_complex_numIdEEEviiiPKT0_S5_S5_PS3_, .Lfunc_end77-_ZN9rocsparseL44gtsv_nopivot_strided_batch_pcr_shared_kernelILj128E21rocsparse_complex_numIdEEEviiiPKT0_S5_S5_PS3_
                                        ; -- End function
	.section	.AMDGPU.csdata,"",@progbits
; Kernel info:
; codeLenInByte = 2192
; NumSgprs: 18
; NumVgprs: 64
; ScratchSize: 0
; MemoryBound: 1
; FloatMode: 240
; IeeeMode: 1
; LDSByteSize: 10240 bytes/workgroup (compile time only)
; SGPRBlocks: 2
; VGPRBlocks: 7
; NumSGPRsForWavesPerEU: 18
; NumVGPRsForWavesPerEU: 64
; Occupancy: 12
; WaveLimiterHint : 0
; COMPUTE_PGM_RSRC2:SCRATCH_EN: 0
; COMPUTE_PGM_RSRC2:USER_SGPR: 15
; COMPUTE_PGM_RSRC2:TRAP_HANDLER: 0
; COMPUTE_PGM_RSRC2:TGID_X_EN: 1
; COMPUTE_PGM_RSRC2:TGID_Y_EN: 0
; COMPUTE_PGM_RSRC2:TGID_Z_EN: 0
; COMPUTE_PGM_RSRC2:TIDIG_COMP_CNT: 0
	.section	.text._ZN9rocsparseL44gtsv_nopivot_strided_batch_pcr_shared_kernelILj256E21rocsparse_complex_numIdEEEviiiPKT0_S5_S5_PS3_,"axG",@progbits,_ZN9rocsparseL44gtsv_nopivot_strided_batch_pcr_shared_kernelILj256E21rocsparse_complex_numIdEEEviiiPKT0_S5_S5_PS3_,comdat
	.globl	_ZN9rocsparseL44gtsv_nopivot_strided_batch_pcr_shared_kernelILj256E21rocsparse_complex_numIdEEEviiiPKT0_S5_S5_PS3_ ; -- Begin function _ZN9rocsparseL44gtsv_nopivot_strided_batch_pcr_shared_kernelILj256E21rocsparse_complex_numIdEEEviiiPKT0_S5_S5_PS3_
	.p2align	8
	.type	_ZN9rocsparseL44gtsv_nopivot_strided_batch_pcr_shared_kernelILj256E21rocsparse_complex_numIdEEEviiiPKT0_S5_S5_PS3_,@function
_ZN9rocsparseL44gtsv_nopivot_strided_batch_pcr_shared_kernelILj256E21rocsparse_complex_numIdEEEviiiPKT0_S5_S5_PS3_: ; @_ZN9rocsparseL44gtsv_nopivot_strided_batch_pcr_shared_kernelILj256E21rocsparse_complex_numIdEEEviiiPKT0_S5_S5_PS3_
; %bb.0:
	s_clause 0x1
	s_load_b32 s2, s[0:1], 0x8
	s_load_b32 s3, s[0:1], 0x0
	s_waitcnt lgkmcnt(0)
	v_mad_u64_u32 v[13:14], null, s15, s2, v[0:1]
	v_mov_b32_e32 v1, 0
	v_mov_b32_e32 v2, 0
	v_cmp_gt_i32_e64 s2, s3, v0
	s_delay_alu instid0(VALU_DEP_2) | instskip(SKIP_2) | instid1(VALU_DEP_4)
	v_dual_mov_b32 v6, v2 :: v_dual_mov_b32 v5, v1
	v_ashrrev_i32_e32 v14, 31, v13
	v_dual_mov_b32 v8, v2 :: v_dual_mov_b32 v7, v1
	s_and_saveexec_b32 s4, s2
	s_cbranch_execz .LBB78_2
; %bb.1:
	s_load_b64 s[6:7], s[0:1], 0x10
	v_lshlrev_b64 v[3:4], 4, v[13:14]
	s_waitcnt lgkmcnt(0)
	s_delay_alu instid0(VALU_DEP_1) | instskip(NEXT) | instid1(VALU_DEP_2)
	v_add_co_u32 v3, vcc_lo, s6, v3
	v_add_co_ci_u32_e32 v4, vcc_lo, s7, v4, vcc_lo
	global_load_b128 v[5:8], v[3:4], off
.LBB78_2:
	s_or_b32 exec_lo, exec_lo, s4
	v_dual_mov_b32 v4, v2 :: v_dual_lshlrev_b32 v15, 4, v0
	v_mov_b32_e32 v3, v1
	s_waitcnt vmcnt(0)
	ds_store_b128 v15, v[5:8]
	s_and_saveexec_b32 s4, s2
	s_cbranch_execz .LBB78_4
; %bb.3:
	s_load_b64 s[6:7], s[0:1], 0x18
	v_lshlrev_b64 v[1:2], 4, v[13:14]
	s_waitcnt lgkmcnt(0)
	s_delay_alu instid0(VALU_DEP_1) | instskip(NEXT) | instid1(VALU_DEP_2)
	v_add_co_u32 v1, vcc_lo, s6, v1
	v_add_co_ci_u32_e32 v2, vcc_lo, s7, v2, vcc_lo
	global_load_b128 v[1:4], v[1:2], off
.LBB78_4:
	s_or_b32 exec_lo, exec_lo, s4
	s_load_b64 s[4:5], s[0:1], 0x28
	v_mov_b32_e32 v5, 0
	v_mov_b32_e32 v6, 0
	s_waitcnt vmcnt(0)
	ds_store_b128 v15, v[1:4] offset:4096
	v_dual_mov_b32 v10, v6 :: v_dual_mov_b32 v9, v5
	v_dual_mov_b32 v12, v6 :: v_dual_mov_b32 v11, v5
	s_and_saveexec_b32 s6, s2
	s_cbranch_execz .LBB78_6
; %bb.5:
	s_load_b64 s[0:1], s[0:1], 0x20
	v_lshlrev_b64 v[1:2], 4, v[13:14]
	s_waitcnt lgkmcnt(0)
	s_delay_alu instid0(VALU_DEP_1) | instskip(NEXT) | instid1(VALU_DEP_2)
	v_add_co_u32 v1, vcc_lo, s0, v1
	v_add_co_ci_u32_e32 v2, vcc_lo, s1, v2, vcc_lo
	global_load_b128 v[9:12], v[1:2], off
.LBB78_6:
	s_or_b32 exec_lo, exec_lo, s6
	v_dual_mov_b32 v8, v6 :: v_dual_mov_b32 v7, v5
	s_waitcnt vmcnt(0)
	ds_store_b128 v15, v[9:12] offset:8192
	s_and_saveexec_b32 s0, s2
	s_cbranch_execz .LBB78_8
; %bb.7:
	v_lshlrev_b64 v[1:2], 4, v[13:14]
	s_waitcnt lgkmcnt(0)
	s_delay_alu instid0(VALU_DEP_1) | instskip(NEXT) | instid1(VALU_DEP_2)
	v_add_co_u32 v1, vcc_lo, s4, v1
	v_add_co_ci_u32_e32 v2, vcc_lo, s5, v2, vcc_lo
	global_load_b128 v[5:8], v[1:2], off
.LBB78_8:
	s_or_b32 exec_lo, exec_lo, s0
	v_or_b32_e32 v11, 0x1000, v15
	v_or_b32_e32 v10, 0x2000, v15
	v_or_b32_e32 v9, 0x4000, v15
	s_add_i32 s1, s3, -1
	s_mov_b32 s6, 1
	s_mov_b32 s7, 7
	s_waitcnt vmcnt(0)
	ds_store_b128 v15, v[5:8] offset:16384
	s_waitcnt lgkmcnt(0)
	s_barrier
	buffer_gl0_inv
.LBB78_9:                               ; =>This Inner Loop Header: Depth=1
	v_subrev_nc_u32_e32 v1, s6, v0
	v_add_nc_u32_e32 v16, s6, v0
	s_add_i32 s7, s7, -1
	s_lshl_b32 s6, s6, 1
	s_cmp_eq_u32 s7, 0
	v_max_i32_e32 v1, 0, v1
	v_cmp_gt_i32_e32 vcc_lo, s3, v16
	s_delay_alu instid0(VALU_DEP_2)
	v_lshlrev_b32_e32 v12, 4, v1
	v_cndmask_b32_e32 v16, s1, v16, vcc_lo
	ds_load_b128 v[1:4], v12 offset:4096
	ds_load_b128 v[5:8], v12
	v_lshlrev_b32_e32 v58, 4, v16
	ds_load_b128 v[16:19], v58 offset:4096
	ds_load_b128 v[20:23], v58
	s_waitcnt lgkmcnt(3)
	v_mul_f64 v[24:25], v[3:4], v[3:4]
	s_waitcnt lgkmcnt(1)
	v_mul_f64 v[26:27], v[18:19], v[18:19]
	s_delay_alu instid0(VALU_DEP_2) | instskip(NEXT) | instid1(VALU_DEP_2)
	v_fma_f64 v[40:41], v[1:2], v[1:2], v[24:25]
	v_fma_f64 v[42:43], v[16:17], v[16:17], v[26:27]
	s_delay_alu instid0(VALU_DEP_2) | instskip(NEXT) | instid1(VALU_DEP_2)
	v_div_scale_f64 v[24:25], null, v[40:41], v[40:41], 1.0
	v_div_scale_f64 v[32:33], null, v[42:43], v[42:43], 1.0
	v_div_scale_f64 v[44:45], s0, 1.0, v[42:43], 1.0
	s_delay_alu instid0(VALU_DEP_3) | instskip(NEXT) | instid1(VALU_DEP_2)
	v_rcp_f64_e32 v[26:27], v[24:25]
	v_rcp_f64_e32 v[28:29], v[32:33]
	s_waitcnt_depctr 0xfff
	v_fma_f64 v[30:31], -v[24:25], v[26:27], 1.0
	v_fma_f64 v[34:35], -v[32:33], v[28:29], 1.0
	s_delay_alu instid0(VALU_DEP_2) | instskip(NEXT) | instid1(VALU_DEP_2)
	v_fma_f64 v[26:27], v[26:27], v[30:31], v[26:27]
	v_fma_f64 v[28:29], v[28:29], v[34:35], v[28:29]
	v_div_scale_f64 v[34:35], vcc_lo, 1.0, v[40:41], 1.0
	s_delay_alu instid0(VALU_DEP_3) | instskip(NEXT) | instid1(VALU_DEP_3)
	v_fma_f64 v[30:31], -v[24:25], v[26:27], 1.0
	v_fma_f64 v[36:37], -v[32:33], v[28:29], 1.0
	s_delay_alu instid0(VALU_DEP_2) | instskip(NEXT) | instid1(VALU_DEP_2)
	v_fma_f64 v[38:39], v[26:27], v[30:31], v[26:27]
	v_fma_f64 v[46:47], v[28:29], v[36:37], v[28:29]
	s_delay_alu instid0(VALU_DEP_2) | instskip(NEXT) | instid1(VALU_DEP_2)
	v_mul_f64 v[36:37], v[34:35], v[38:39]
	v_mul_f64 v[48:49], v[44:45], v[46:47]
	s_delay_alu instid0(VALU_DEP_2)
	v_fma_f64 v[34:35], -v[24:25], v[36:37], v[34:35]
	ds_load_b128 v[24:27], v15
	ds_load_b128 v[28:31], v11
	v_fma_f64 v[44:45], -v[32:33], v[48:49], v[44:45]
	s_waitcnt lgkmcnt(1)
	v_mul_f64 v[50:51], v[3:4], -v[24:25]
	v_mul_f64 v[3:4], v[3:4], v[26:27]
	v_div_fmas_f64 v[52:53], v[34:35], v[38:39], v[36:37]
	ds_load_b128 v[32:35], v10
	ds_load_b128 v[36:39], v9
	s_mov_b32 vcc_lo, s0
	v_div_fmas_f64 v[44:45], v[44:45], v[46:47], v[48:49]
	s_waitcnt lgkmcnt(1)
	v_mul_f64 v[54:55], v[18:19], -v[32:33]
	v_fma_f64 v[26:27], v[26:27], v[1:2], v[50:51]
	v_mul_f64 v[18:19], v[18:19], v[34:35]
	v_fma_f64 v[46:47], v[24:25], v[1:2], v[3:4]
	v_div_fixup_f64 v[40:41], v[52:53], v[40:41], 1.0
	v_div_fixup_f64 v[42:43], v[44:45], v[42:43], 1.0
	v_fma_f64 v[34:35], v[34:35], v[16:17], v[54:55]
	v_fma_f64 v[48:49], v[32:33], v[16:17], v[18:19]
	s_delay_alu instid0(VALU_DEP_4)
	v_mul_f64 v[44:45], v[40:41], v[26:27]
	ds_load_b128 v[1:4], v12 offset:8192
	ds_load_b128 v[24:27], v12 offset:16384
	v_mul_f64 v[40:41], v[40:41], v[46:47]
	v_mul_f64 v[46:47], v[42:43], v[34:35]
	ds_load_b128 v[16:19], v58 offset:16384
	ds_load_b128 v[32:35], v58 offset:8192
	v_mul_f64 v[42:43], v[42:43], v[48:49]
	s_waitcnt lgkmcnt(0)
	s_barrier
	buffer_gl0_inv
	v_mul_f64 v[50:51], v[44:45], -v[3:4]
	v_mul_f64 v[52:53], v[44:45], v[1:2]
	v_mul_f64 v[54:55], v[44:45], -v[26:27]
	v_mul_f64 v[56:57], v[44:45], v[24:25]
	;; [unrolled: 2-line block ×4, first 2 shown]
	v_fma_f64 v[1:2], v[1:2], v[40:41], v[50:51]
	v_fma_f64 v[3:4], v[3:4], v[40:41], v[52:53]
	;; [unrolled: 1-line block ×4, first 2 shown]
	v_mul_f64 v[50:51], v[44:45], v[7:8]
	v_mul_f64 v[44:45], v[44:45], -v[5:6]
	v_mul_f64 v[52:53], v[46:47], v[34:35]
	v_mul_f64 v[46:47], v[46:47], -v[32:33]
	v_fma_f64 v[20:21], v[20:21], v[42:43], v[48:49]
	v_fma_f64 v[22:23], v[22:23], v[42:43], v[58:59]
	v_fma_f64 v[48:49], v[16:17], v[42:43], v[60:61]
	v_fma_f64 v[54:55], v[18:19], v[42:43], v[62:63]
	v_add_f64 v[16:17], v[28:29], -v[1:2]
	v_add_f64 v[18:19], v[30:31], -v[3:4]
	;; [unrolled: 1-line block ×4, first 2 shown]
	v_fma_f64 v[1:2], -v[5:6], v[40:41], v[50:51]
	v_fma_f64 v[3:4], -v[7:8], v[40:41], v[44:45]
	;; [unrolled: 1-line block ×4, first 2 shown]
	v_add_f64 v[16:17], v[16:17], -v[20:21]
	v_add_f64 v[18:19], v[18:19], -v[22:23]
	;; [unrolled: 1-line block ×4, first 2 shown]
	ds_store_b128 v11, v[16:19]
	ds_store_b128 v15, v[1:4]
	;; [unrolled: 1-line block ×4, first 2 shown]
	s_waitcnt lgkmcnt(0)
	s_barrier
	buffer_gl0_inv
	s_cbranch_scc0 .LBB78_9
; %bb.10:
	s_mov_b32 s0, exec_lo
	v_cmpx_gt_u32_e32 0x80, v0
	s_cbranch_execz .LBB78_16
; %bb.11:
	v_or_b32_e32 v5, 0x80, v0
	s_mov_b32 s1, exec_lo
                                        ; implicit-def: $vgpr3_vgpr4
	s_delay_alu instid0(VALU_DEP_1)
	v_cmpx_le_i32_e64 s3, v5
	s_xor_b32 s1, exec_lo, s1
	s_cbranch_execz .LBB78_13
; %bb.12:
	ds_load_b128 v[1:4], v11
	ds_load_b128 v[5:8], v9
	s_waitcnt lgkmcnt(1)
	v_mul_f64 v[9:10], v[3:4], v[3:4]
	s_delay_alu instid0(VALU_DEP_1) | instskip(NEXT) | instid1(VALU_DEP_1)
	v_fma_f64 v[9:10], v[1:2], v[1:2], v[9:10]
	v_div_scale_f64 v[11:12], null, v[9:10], v[9:10], 1.0
	v_div_scale_f64 v[19:20], vcc_lo, 1.0, v[9:10], 1.0
	s_delay_alu instid0(VALU_DEP_2) | instskip(SKIP_2) | instid1(VALU_DEP_1)
	v_rcp_f64_e32 v[15:16], v[11:12]
	s_waitcnt_depctr 0xfff
	v_fma_f64 v[17:18], -v[11:12], v[15:16], 1.0
	v_fma_f64 v[15:16], v[15:16], v[17:18], v[15:16]
	s_delay_alu instid0(VALU_DEP_1) | instskip(NEXT) | instid1(VALU_DEP_1)
	v_fma_f64 v[17:18], -v[11:12], v[15:16], 1.0
	v_fma_f64 v[15:16], v[15:16], v[17:18], v[15:16]
	s_delay_alu instid0(VALU_DEP_1) | instskip(NEXT) | instid1(VALU_DEP_1)
	v_mul_f64 v[17:18], v[19:20], v[15:16]
	v_fma_f64 v[11:12], -v[11:12], v[17:18], v[19:20]
	s_waitcnt lgkmcnt(0)
	v_mul_f64 v[19:20], v[3:4], v[7:8]
	v_mul_f64 v[3:4], v[3:4], -v[5:6]
	s_delay_alu instid0(VALU_DEP_3) | instskip(NEXT) | instid1(VALU_DEP_3)
	v_div_fmas_f64 v[11:12], v[11:12], v[15:16], v[17:18]
	v_fma_f64 v[5:6], v[5:6], v[1:2], v[19:20]
	s_delay_alu instid0(VALU_DEP_3) | instskip(NEXT) | instid1(VALU_DEP_3)
	v_fma_f64 v[3:4], v[7:8], v[1:2], v[3:4]
                                        ; implicit-def: $vgpr15
	v_div_fixup_f64 v[9:10], v[11:12], v[9:10], 1.0
                                        ; implicit-def: $vgpr11
	s_delay_alu instid0(VALU_DEP_1) | instskip(NEXT) | instid1(VALU_DEP_3)
	v_mul_f64 v[1:2], v[9:10], v[5:6]
	v_mul_f64 v[3:4], v[9:10], v[3:4]
                                        ; implicit-def: $vgpr10
                                        ; implicit-def: $vgpr9
                                        ; implicit-def: $vgpr5
.LBB78_13:
	s_or_saveexec_b32 s1, s1
	v_mov_b32_e32 v6, v0
	s_xor_b32 exec_lo, exec_lo, s1
	s_cbranch_execz .LBB78_15
; %bb.14:
	ds_load_b128 v[1:4], v11
	ds_load_b128 v[16:19], v11 offset:2048
	ds_load_b128 v[20:23], v15 offset:2048
	ds_load_b128 v[24:27], v10
	s_waitcnt lgkmcnt(2)
	v_mul_f64 v[6:7], v[3:4], v[16:17]
	v_mul_f64 v[28:29], v[3:4], -v[18:19]
	s_waitcnt lgkmcnt(0)
	v_mul_f64 v[10:11], v[22:23], v[24:25]
	v_mul_f64 v[30:31], v[22:23], -v[26:27]
	s_delay_alu instid0(VALU_DEP_4) | instskip(NEXT) | instid1(VALU_DEP_4)
	v_fma_f64 v[6:7], v[18:19], v[1:2], v[6:7]
	v_fma_f64 v[28:29], v[16:17], v[1:2], v[28:29]
	s_delay_alu instid0(VALU_DEP_4) | instskip(NEXT) | instid1(VALU_DEP_4)
	v_fma_f64 v[10:11], v[26:27], v[20:21], v[10:11]
	v_fma_f64 v[30:31], v[24:25], v[20:21], v[30:31]
	s_delay_alu instid0(VALU_DEP_2) | instskip(NEXT) | instid1(VALU_DEP_2)
	v_add_f64 v[10:11], v[6:7], -v[10:11]
	v_add_f64 v[32:33], v[28:29], -v[30:31]
	s_delay_alu instid0(VALU_DEP_2) | instskip(NEXT) | instid1(VALU_DEP_1)
	v_mul_f64 v[6:7], v[10:11], v[10:11]
	v_fma_f64 v[34:35], v[32:33], v[32:33], v[6:7]
	s_delay_alu instid0(VALU_DEP_1) | instskip(SKIP_1) | instid1(VALU_DEP_2)
	v_div_scale_f64 v[6:7], null, v[34:35], v[34:35], 1.0
	v_div_scale_f64 v[36:37], vcc_lo, 1.0, v[34:35], 1.0
	v_rcp_f64_e32 v[28:29], v[6:7]
	s_waitcnt_depctr 0xfff
	v_fma_f64 v[30:31], -v[6:7], v[28:29], 1.0
	s_delay_alu instid0(VALU_DEP_1) | instskip(NEXT) | instid1(VALU_DEP_1)
	v_fma_f64 v[28:29], v[28:29], v[30:31], v[28:29]
	v_fma_f64 v[30:31], -v[6:7], v[28:29], 1.0
	s_delay_alu instid0(VALU_DEP_1) | instskip(NEXT) | instid1(VALU_DEP_1)
	v_fma_f64 v[38:39], v[28:29], v[30:31], v[28:29]
	v_mul_f64 v[40:41], v[36:37], v[38:39]
	s_delay_alu instid0(VALU_DEP_1)
	v_fma_f64 v[36:37], -v[6:7], v[40:41], v[36:37]
	ds_load_b128 v[28:31], v9
	ds_load_b128 v[6:9], v9 offset:2048
	s_waitcnt lgkmcnt(1)
	v_mul_f64 v[42:43], v[30:31], -v[18:19]
	v_mul_f64 v[44:45], v[16:17], v[30:31]
	s_waitcnt lgkmcnt(0)
	v_mul_f64 v[46:47], v[8:9], -v[26:27]
	v_mul_f64 v[48:49], v[24:25], v[8:9]
	v_mul_f64 v[50:51], v[3:4], -v[8:9]
	v_mul_f64 v[3:4], v[3:4], v[6:7]
	v_div_fmas_f64 v[36:37], v[36:37], v[38:39], v[40:41]
	v_mul_f64 v[38:39], v[22:23], v[28:29]
	v_mul_f64 v[22:23], v[22:23], -v[30:31]
	v_fma_f64 v[40:41], v[32:33], 0, -v[10:11]
	v_fma_f64 v[10:11], v[10:11], 0, v[32:33]
	v_fma_f64 v[16:17], v[16:17], v[28:29], v[42:43]
	;; [unrolled: 1-line block ×7, first 2 shown]
	v_div_fixup_f64 v[34:35], v[36:37], v[34:35], 1.0
	v_fma_f64 v[3:4], v[30:31], v[20:21], v[38:39]
	v_fma_f64 v[8:9], v[28:29], v[20:21], v[22:23]
	v_add_f64 v[16:17], v[16:17], -v[24:25]
	v_add_f64 v[18:19], v[18:19], -v[26:27]
	v_mul_f64 v[20:21], v[40:41], v[34:35]
	v_add_f64 v[3:4], v[1:2], -v[3:4]
	v_add_f64 v[1:2], v[6:7], -v[8:9]
	v_mul_f64 v[11:12], v[10:11], v[34:35]
	s_delay_alu instid0(VALU_DEP_4) | instskip(SKIP_3) | instid1(VALU_DEP_4)
	v_mul_f64 v[6:7], v[20:21], -v[18:19]
	v_mul_f64 v[9:10], v[20:21], v[16:17]
	v_mul_f64 v[22:23], v[20:21], -v[3:4]
	v_mul_f64 v[20:21], v[20:21], v[1:2]
	v_fma_f64 v[7:8], v[16:17], v[11:12], v[6:7]
	s_delay_alu instid0(VALU_DEP_4) | instskip(NEXT) | instid1(VALU_DEP_4)
	v_fma_f64 v[9:10], v[18:19], v[11:12], v[9:10]
	v_fma_f64 v[1:2], v[1:2], v[11:12], v[22:23]
	s_delay_alu instid0(VALU_DEP_4)
	v_fma_f64 v[3:4], v[3:4], v[11:12], v[20:21]
	v_mov_b32_e32 v6, v5
	ds_store_b128 v15, v[7:10] offset:12288
.LBB78_15:
	s_or_b32 exec_lo, exec_lo, s1
	s_delay_alu instid0(VALU_DEP_1)
	v_lshlrev_b32_e32 v5, 4, v6
	ds_store_b128 v5, v[1:4] offset:12288
.LBB78_16:
	s_or_b32 exec_lo, exec_lo, s0
	s_waitcnt lgkmcnt(0)
	s_barrier
	buffer_gl0_inv
	s_and_saveexec_b32 s0, s2
	s_cbranch_execz .LBB78_18
; %bb.17:
	v_lshl_or_b32 v0, v0, 4, 0x3000
	v_lshlrev_b64 v[4:5], 4, v[13:14]
	ds_load_2addr_b64 v[0:3], v0 offset1:1
	v_add_co_u32 v4, vcc_lo, s4, v4
	v_add_co_ci_u32_e32 v5, vcc_lo, s5, v5, vcc_lo
	s_waitcnt lgkmcnt(0)
	global_store_b128 v[4:5], v[0:3], off
.LBB78_18:
	s_nop 0
	s_sendmsg sendmsg(MSG_DEALLOC_VGPRS)
	s_endpgm
	.section	.rodata,"a",@progbits
	.p2align	6, 0x0
	.amdhsa_kernel _ZN9rocsparseL44gtsv_nopivot_strided_batch_pcr_shared_kernelILj256E21rocsparse_complex_numIdEEEviiiPKT0_S5_S5_PS3_
		.amdhsa_group_segment_fixed_size 20480
		.amdhsa_private_segment_fixed_size 0
		.amdhsa_kernarg_size 48
		.amdhsa_user_sgpr_count 15
		.amdhsa_user_sgpr_dispatch_ptr 0
		.amdhsa_user_sgpr_queue_ptr 0
		.amdhsa_user_sgpr_kernarg_segment_ptr 1
		.amdhsa_user_sgpr_dispatch_id 0
		.amdhsa_user_sgpr_private_segment_size 0
		.amdhsa_wavefront_size32 1
		.amdhsa_uses_dynamic_stack 0
		.amdhsa_enable_private_segment 0
		.amdhsa_system_sgpr_workgroup_id_x 1
		.amdhsa_system_sgpr_workgroup_id_y 0
		.amdhsa_system_sgpr_workgroup_id_z 0
		.amdhsa_system_sgpr_workgroup_info 0
		.amdhsa_system_vgpr_workitem_id 0
		.amdhsa_next_free_vgpr 64
		.amdhsa_next_free_sgpr 16
		.amdhsa_reserve_vcc 1
		.amdhsa_float_round_mode_32 0
		.amdhsa_float_round_mode_16_64 0
		.amdhsa_float_denorm_mode_32 3
		.amdhsa_float_denorm_mode_16_64 3
		.amdhsa_dx10_clamp 1
		.amdhsa_ieee_mode 1
		.amdhsa_fp16_overflow 0
		.amdhsa_workgroup_processor_mode 1
		.amdhsa_memory_ordered 1
		.amdhsa_forward_progress 0
		.amdhsa_shared_vgpr_count 0
		.amdhsa_exception_fp_ieee_invalid_op 0
		.amdhsa_exception_fp_denorm_src 0
		.amdhsa_exception_fp_ieee_div_zero 0
		.amdhsa_exception_fp_ieee_overflow 0
		.amdhsa_exception_fp_ieee_underflow 0
		.amdhsa_exception_fp_ieee_inexact 0
		.amdhsa_exception_int_div_zero 0
	.end_amdhsa_kernel
	.section	.text._ZN9rocsparseL44gtsv_nopivot_strided_batch_pcr_shared_kernelILj256E21rocsparse_complex_numIdEEEviiiPKT0_S5_S5_PS3_,"axG",@progbits,_ZN9rocsparseL44gtsv_nopivot_strided_batch_pcr_shared_kernelILj256E21rocsparse_complex_numIdEEEviiiPKT0_S5_S5_PS3_,comdat
.Lfunc_end78:
	.size	_ZN9rocsparseL44gtsv_nopivot_strided_batch_pcr_shared_kernelILj256E21rocsparse_complex_numIdEEEviiiPKT0_S5_S5_PS3_, .Lfunc_end78-_ZN9rocsparseL44gtsv_nopivot_strided_batch_pcr_shared_kernelILj256E21rocsparse_complex_numIdEEEviiiPKT0_S5_S5_PS3_
                                        ; -- End function
	.section	.AMDGPU.csdata,"",@progbits
; Kernel info:
; codeLenInByte = 2200
; NumSgprs: 18
; NumVgprs: 64
; ScratchSize: 0
; MemoryBound: 1
; FloatMode: 240
; IeeeMode: 1
; LDSByteSize: 20480 bytes/workgroup (compile time only)
; SGPRBlocks: 2
; VGPRBlocks: 7
; NumSGPRsForWavesPerEU: 18
; NumVGPRsForWavesPerEU: 64
; Occupancy: 12
; WaveLimiterHint : 0
; COMPUTE_PGM_RSRC2:SCRATCH_EN: 0
; COMPUTE_PGM_RSRC2:USER_SGPR: 15
; COMPUTE_PGM_RSRC2:TRAP_HANDLER: 0
; COMPUTE_PGM_RSRC2:TGID_X_EN: 1
; COMPUTE_PGM_RSRC2:TGID_Y_EN: 0
; COMPUTE_PGM_RSRC2:TGID_Z_EN: 0
; COMPUTE_PGM_RSRC2:TIDIG_COMP_CNT: 0
	.section	.text._ZN9rocsparseL44gtsv_nopivot_strided_batch_pcr_shared_kernelILj512E21rocsparse_complex_numIdEEEviiiPKT0_S5_S5_PS3_,"axG",@progbits,_ZN9rocsparseL44gtsv_nopivot_strided_batch_pcr_shared_kernelILj512E21rocsparse_complex_numIdEEEviiiPKT0_S5_S5_PS3_,comdat
	.globl	_ZN9rocsparseL44gtsv_nopivot_strided_batch_pcr_shared_kernelILj512E21rocsparse_complex_numIdEEEviiiPKT0_S5_S5_PS3_ ; -- Begin function _ZN9rocsparseL44gtsv_nopivot_strided_batch_pcr_shared_kernelILj512E21rocsparse_complex_numIdEEEviiiPKT0_S5_S5_PS3_
	.p2align	8
	.type	_ZN9rocsparseL44gtsv_nopivot_strided_batch_pcr_shared_kernelILj512E21rocsparse_complex_numIdEEEviiiPKT0_S5_S5_PS3_,@function
_ZN9rocsparseL44gtsv_nopivot_strided_batch_pcr_shared_kernelILj512E21rocsparse_complex_numIdEEEviiiPKT0_S5_S5_PS3_: ; @_ZN9rocsparseL44gtsv_nopivot_strided_batch_pcr_shared_kernelILj512E21rocsparse_complex_numIdEEEviiiPKT0_S5_S5_PS3_
; %bb.0:
	s_clause 0x1
	s_load_b32 s2, s[0:1], 0x8
	s_load_b32 s3, s[0:1], 0x0
	s_waitcnt lgkmcnt(0)
	v_mad_u64_u32 v[13:14], null, s15, s2, v[0:1]
	v_mov_b32_e32 v1, 0
	v_mov_b32_e32 v2, 0
	v_cmp_gt_i32_e64 s2, s3, v0
	s_delay_alu instid0(VALU_DEP_2) | instskip(SKIP_2) | instid1(VALU_DEP_4)
	v_dual_mov_b32 v6, v2 :: v_dual_mov_b32 v5, v1
	v_ashrrev_i32_e32 v14, 31, v13
	v_dual_mov_b32 v8, v2 :: v_dual_mov_b32 v7, v1
	s_and_saveexec_b32 s4, s2
	s_cbranch_execz .LBB79_2
; %bb.1:
	s_load_b64 s[6:7], s[0:1], 0x10
	v_lshlrev_b64 v[3:4], 4, v[13:14]
	s_waitcnt lgkmcnt(0)
	s_delay_alu instid0(VALU_DEP_1) | instskip(NEXT) | instid1(VALU_DEP_2)
	v_add_co_u32 v3, vcc_lo, s6, v3
	v_add_co_ci_u32_e32 v4, vcc_lo, s7, v4, vcc_lo
	global_load_b128 v[5:8], v[3:4], off
.LBB79_2:
	s_or_b32 exec_lo, exec_lo, s4
	v_dual_mov_b32 v4, v2 :: v_dual_lshlrev_b32 v15, 4, v0
	v_mov_b32_e32 v3, v1
	s_waitcnt vmcnt(0)
	ds_store_b128 v15, v[5:8]
	s_and_saveexec_b32 s4, s2
	s_cbranch_execz .LBB79_4
; %bb.3:
	s_load_b64 s[6:7], s[0:1], 0x18
	v_lshlrev_b64 v[1:2], 4, v[13:14]
	s_waitcnt lgkmcnt(0)
	s_delay_alu instid0(VALU_DEP_1) | instskip(NEXT) | instid1(VALU_DEP_2)
	v_add_co_u32 v1, vcc_lo, s6, v1
	v_add_co_ci_u32_e32 v2, vcc_lo, s7, v2, vcc_lo
	global_load_b128 v[1:4], v[1:2], off
.LBB79_4:
	s_or_b32 exec_lo, exec_lo, s4
	s_load_b64 s[4:5], s[0:1], 0x28
	v_mov_b32_e32 v5, 0
	v_mov_b32_e32 v6, 0
	s_waitcnt vmcnt(0)
	ds_store_b128 v15, v[1:4] offset:8192
	v_dual_mov_b32 v10, v6 :: v_dual_mov_b32 v9, v5
	v_dual_mov_b32 v12, v6 :: v_dual_mov_b32 v11, v5
	s_and_saveexec_b32 s6, s2
	s_cbranch_execz .LBB79_6
; %bb.5:
	s_load_b64 s[0:1], s[0:1], 0x20
	v_lshlrev_b64 v[1:2], 4, v[13:14]
	s_waitcnt lgkmcnt(0)
	s_delay_alu instid0(VALU_DEP_1) | instskip(NEXT) | instid1(VALU_DEP_2)
	v_add_co_u32 v1, vcc_lo, s0, v1
	v_add_co_ci_u32_e32 v2, vcc_lo, s1, v2, vcc_lo
	global_load_b128 v[9:12], v[1:2], off
.LBB79_6:
	s_or_b32 exec_lo, exec_lo, s6
	v_dual_mov_b32 v8, v6 :: v_dual_mov_b32 v7, v5
	s_waitcnt vmcnt(0)
	ds_store_b128 v15, v[9:12] offset:16384
	s_and_saveexec_b32 s0, s2
	s_cbranch_execz .LBB79_8
; %bb.7:
	v_lshlrev_b64 v[1:2], 4, v[13:14]
	s_waitcnt lgkmcnt(0)
	s_delay_alu instid0(VALU_DEP_1) | instskip(NEXT) | instid1(VALU_DEP_2)
	v_add_co_u32 v1, vcc_lo, s4, v1
	v_add_co_ci_u32_e32 v2, vcc_lo, s5, v2, vcc_lo
	global_load_b128 v[5:8], v[1:2], off
.LBB79_8:
	s_or_b32 exec_lo, exec_lo, s0
	v_or_b32_e32 v11, 0x2000, v15
	v_or_b32_e32 v10, 0x4000, v15
	;; [unrolled: 1-line block ×3, first 2 shown]
	s_add_i32 s1, s3, -1
	s_mov_b32 s6, 1
	s_mov_b32 s7, 8
	s_waitcnt vmcnt(0)
	ds_store_b128 v15, v[5:8] offset:32768
	s_waitcnt lgkmcnt(0)
	s_barrier
	buffer_gl0_inv
.LBB79_9:                               ; =>This Inner Loop Header: Depth=1
	v_subrev_nc_u32_e32 v1, s6, v0
	v_add_nc_u32_e32 v16, s6, v0
	s_add_i32 s7, s7, -1
	s_lshl_b32 s6, s6, 1
	s_cmp_eq_u32 s7, 0
	v_max_i32_e32 v1, 0, v1
	v_cmp_gt_i32_e32 vcc_lo, s3, v16
	s_delay_alu instid0(VALU_DEP_2)
	v_lshlrev_b32_e32 v12, 4, v1
	v_cndmask_b32_e32 v16, s1, v16, vcc_lo
	ds_load_b128 v[1:4], v12 offset:8192
	ds_load_b128 v[5:8], v12 offset:16384
	v_lshlrev_b32_e32 v58, 4, v16
	ds_load_b128 v[16:19], v58 offset:8192
	ds_load_b128 v[20:23], v58 offset:16384
	s_waitcnt lgkmcnt(3)
	v_mul_f64 v[24:25], v[3:4], v[3:4]
	s_waitcnt lgkmcnt(1)
	v_mul_f64 v[26:27], v[18:19], v[18:19]
	s_delay_alu instid0(VALU_DEP_2) | instskip(NEXT) | instid1(VALU_DEP_2)
	v_fma_f64 v[40:41], v[1:2], v[1:2], v[24:25]
	v_fma_f64 v[42:43], v[16:17], v[16:17], v[26:27]
	s_delay_alu instid0(VALU_DEP_2) | instskip(NEXT) | instid1(VALU_DEP_2)
	v_div_scale_f64 v[24:25], null, v[40:41], v[40:41], 1.0
	v_div_scale_f64 v[32:33], null, v[42:43], v[42:43], 1.0
	v_div_scale_f64 v[44:45], s0, 1.0, v[42:43], 1.0
	s_delay_alu instid0(VALU_DEP_3) | instskip(NEXT) | instid1(VALU_DEP_2)
	v_rcp_f64_e32 v[26:27], v[24:25]
	v_rcp_f64_e32 v[28:29], v[32:33]
	s_waitcnt_depctr 0xfff
	v_fma_f64 v[30:31], -v[24:25], v[26:27], 1.0
	v_fma_f64 v[34:35], -v[32:33], v[28:29], 1.0
	s_delay_alu instid0(VALU_DEP_2) | instskip(NEXT) | instid1(VALU_DEP_2)
	v_fma_f64 v[26:27], v[26:27], v[30:31], v[26:27]
	v_fma_f64 v[28:29], v[28:29], v[34:35], v[28:29]
	v_div_scale_f64 v[34:35], vcc_lo, 1.0, v[40:41], 1.0
	s_delay_alu instid0(VALU_DEP_3) | instskip(NEXT) | instid1(VALU_DEP_3)
	v_fma_f64 v[30:31], -v[24:25], v[26:27], 1.0
	v_fma_f64 v[36:37], -v[32:33], v[28:29], 1.0
	s_delay_alu instid0(VALU_DEP_2) | instskip(NEXT) | instid1(VALU_DEP_2)
	v_fma_f64 v[38:39], v[26:27], v[30:31], v[26:27]
	v_fma_f64 v[46:47], v[28:29], v[36:37], v[28:29]
	s_delay_alu instid0(VALU_DEP_2) | instskip(NEXT) | instid1(VALU_DEP_2)
	v_mul_f64 v[36:37], v[34:35], v[38:39]
	v_mul_f64 v[48:49], v[44:45], v[46:47]
	s_delay_alu instid0(VALU_DEP_2)
	v_fma_f64 v[34:35], -v[24:25], v[36:37], v[34:35]
	ds_load_b128 v[24:27], v15
	ds_load_b128 v[28:31], v11
	v_fma_f64 v[44:45], -v[32:33], v[48:49], v[44:45]
	s_waitcnt lgkmcnt(1)
	v_mul_f64 v[50:51], v[3:4], -v[24:25]
	v_mul_f64 v[3:4], v[3:4], v[26:27]
	v_div_fmas_f64 v[52:53], v[34:35], v[38:39], v[36:37]
	ds_load_b128 v[32:35], v10
	ds_load_b128 v[36:39], v9
	s_mov_b32 vcc_lo, s0
	v_div_fmas_f64 v[44:45], v[44:45], v[46:47], v[48:49]
	s_waitcnt lgkmcnt(1)
	v_mul_f64 v[54:55], v[18:19], -v[32:33]
	v_fma_f64 v[26:27], v[26:27], v[1:2], v[50:51]
	v_mul_f64 v[18:19], v[18:19], v[34:35]
	v_fma_f64 v[46:47], v[24:25], v[1:2], v[3:4]
	v_div_fixup_f64 v[40:41], v[52:53], v[40:41], 1.0
	v_div_fixup_f64 v[42:43], v[44:45], v[42:43], 1.0
	v_fma_f64 v[34:35], v[34:35], v[16:17], v[54:55]
	v_fma_f64 v[48:49], v[32:33], v[16:17], v[18:19]
	s_delay_alu instid0(VALU_DEP_4)
	v_mul_f64 v[44:45], v[40:41], v[26:27]
	ds_load_b128 v[1:4], v12 offset:32768
	ds_load_b128 v[24:27], v12
	v_mul_f64 v[40:41], v[40:41], v[46:47]
	v_mul_f64 v[46:47], v[42:43], v[34:35]
	ds_load_b128 v[16:19], v58
	ds_load_b128 v[32:35], v58 offset:32768
	v_mul_f64 v[42:43], v[42:43], v[48:49]
	s_waitcnt lgkmcnt(0)
	s_barrier
	buffer_gl0_inv
	v_mul_f64 v[50:51], v[44:45], -v[7:8]
	v_mul_f64 v[52:53], v[44:45], v[5:6]
	v_mul_f64 v[54:55], v[44:45], -v[3:4]
	v_mul_f64 v[56:57], v[44:45], v[1:2]
	;; [unrolled: 2-line block ×4, first 2 shown]
	v_fma_f64 v[5:6], v[5:6], v[40:41], v[50:51]
	v_fma_f64 v[7:8], v[7:8], v[40:41], v[52:53]
	;; [unrolled: 1-line block ×4, first 2 shown]
	v_mul_f64 v[50:51], v[44:45], v[26:27]
	v_mul_f64 v[44:45], v[44:45], -v[24:25]
	v_mul_f64 v[52:53], v[46:47], v[22:23]
	v_mul_f64 v[46:47], v[46:47], -v[20:21]
	v_fma_f64 v[16:17], v[16:17], v[42:43], v[48:49]
	v_fma_f64 v[18:19], v[18:19], v[42:43], v[58:59]
	;; [unrolled: 1-line block ×4, first 2 shown]
	v_add_f64 v[28:29], v[28:29], -v[5:6]
	v_add_f64 v[30:31], v[30:31], -v[7:8]
	;; [unrolled: 1-line block ×4, first 2 shown]
	v_fma_f64 v[1:2], -v[24:25], v[40:41], v[50:51]
	v_fma_f64 v[3:4], -v[26:27], v[40:41], v[44:45]
	;; [unrolled: 1-line block ×4, first 2 shown]
	v_add_f64 v[16:17], v[28:29], -v[16:17]
	v_add_f64 v[18:19], v[30:31], -v[18:19]
	;; [unrolled: 1-line block ×4, first 2 shown]
	ds_store_b128 v11, v[16:19]
	ds_store_b128 v15, v[1:4]
	;; [unrolled: 1-line block ×4, first 2 shown]
	s_waitcnt lgkmcnt(0)
	s_barrier
	buffer_gl0_inv
	s_cbranch_scc0 .LBB79_9
; %bb.10:
	s_mov_b32 s0, exec_lo
	v_cmpx_gt_u32_e32 0x100, v0
	s_cbranch_execz .LBB79_16
; %bb.11:
	v_or_b32_e32 v5, 0x100, v0
	s_mov_b32 s1, exec_lo
                                        ; implicit-def: $vgpr3_vgpr4
	s_delay_alu instid0(VALU_DEP_1)
	v_cmpx_le_i32_e64 s3, v5
	s_xor_b32 s1, exec_lo, s1
	s_cbranch_execz .LBB79_13
; %bb.12:
	ds_load_b128 v[1:4], v11
	ds_load_b128 v[5:8], v9
	s_waitcnt lgkmcnt(1)
	v_mul_f64 v[9:10], v[3:4], v[3:4]
	s_delay_alu instid0(VALU_DEP_1) | instskip(NEXT) | instid1(VALU_DEP_1)
	v_fma_f64 v[9:10], v[1:2], v[1:2], v[9:10]
	v_div_scale_f64 v[11:12], null, v[9:10], v[9:10], 1.0
	v_div_scale_f64 v[19:20], vcc_lo, 1.0, v[9:10], 1.0
	s_delay_alu instid0(VALU_DEP_2) | instskip(SKIP_2) | instid1(VALU_DEP_1)
	v_rcp_f64_e32 v[15:16], v[11:12]
	s_waitcnt_depctr 0xfff
	v_fma_f64 v[17:18], -v[11:12], v[15:16], 1.0
	v_fma_f64 v[15:16], v[15:16], v[17:18], v[15:16]
	s_delay_alu instid0(VALU_DEP_1) | instskip(NEXT) | instid1(VALU_DEP_1)
	v_fma_f64 v[17:18], -v[11:12], v[15:16], 1.0
	v_fma_f64 v[15:16], v[15:16], v[17:18], v[15:16]
	s_delay_alu instid0(VALU_DEP_1) | instskip(NEXT) | instid1(VALU_DEP_1)
	v_mul_f64 v[17:18], v[19:20], v[15:16]
	v_fma_f64 v[11:12], -v[11:12], v[17:18], v[19:20]
	s_waitcnt lgkmcnt(0)
	v_mul_f64 v[19:20], v[3:4], v[7:8]
	v_mul_f64 v[3:4], v[3:4], -v[5:6]
	s_delay_alu instid0(VALU_DEP_3) | instskip(NEXT) | instid1(VALU_DEP_3)
	v_div_fmas_f64 v[11:12], v[11:12], v[15:16], v[17:18]
	v_fma_f64 v[5:6], v[5:6], v[1:2], v[19:20]
	s_delay_alu instid0(VALU_DEP_3) | instskip(NEXT) | instid1(VALU_DEP_3)
	v_fma_f64 v[3:4], v[7:8], v[1:2], v[3:4]
                                        ; implicit-def: $vgpr15
	v_div_fixup_f64 v[9:10], v[11:12], v[9:10], 1.0
                                        ; implicit-def: $vgpr11
	s_delay_alu instid0(VALU_DEP_1) | instskip(NEXT) | instid1(VALU_DEP_3)
	v_mul_f64 v[1:2], v[9:10], v[5:6]
	v_mul_f64 v[3:4], v[9:10], v[3:4]
                                        ; implicit-def: $vgpr10
                                        ; implicit-def: $vgpr9
                                        ; implicit-def: $vgpr5
.LBB79_13:
	s_or_saveexec_b32 s1, s1
	v_mov_b32_e32 v6, v0
	s_xor_b32 exec_lo, exec_lo, s1
	s_cbranch_execz .LBB79_15
; %bb.14:
	ds_load_b128 v[1:4], v11
	ds_load_b128 v[16:19], v11 offset:4096
	ds_load_b128 v[20:23], v15 offset:4096
	ds_load_b128 v[24:27], v10
	s_waitcnt lgkmcnt(2)
	v_mul_f64 v[6:7], v[3:4], v[16:17]
	v_mul_f64 v[28:29], v[3:4], -v[18:19]
	s_waitcnt lgkmcnt(0)
	v_mul_f64 v[10:11], v[22:23], v[24:25]
	v_mul_f64 v[30:31], v[22:23], -v[26:27]
	s_delay_alu instid0(VALU_DEP_4) | instskip(NEXT) | instid1(VALU_DEP_4)
	v_fma_f64 v[6:7], v[18:19], v[1:2], v[6:7]
	v_fma_f64 v[28:29], v[16:17], v[1:2], v[28:29]
	s_delay_alu instid0(VALU_DEP_4) | instskip(NEXT) | instid1(VALU_DEP_4)
	v_fma_f64 v[10:11], v[26:27], v[20:21], v[10:11]
	v_fma_f64 v[30:31], v[24:25], v[20:21], v[30:31]
	s_delay_alu instid0(VALU_DEP_2) | instskip(NEXT) | instid1(VALU_DEP_2)
	v_add_f64 v[10:11], v[6:7], -v[10:11]
	v_add_f64 v[32:33], v[28:29], -v[30:31]
	s_delay_alu instid0(VALU_DEP_2) | instskip(NEXT) | instid1(VALU_DEP_1)
	v_mul_f64 v[6:7], v[10:11], v[10:11]
	v_fma_f64 v[34:35], v[32:33], v[32:33], v[6:7]
	s_delay_alu instid0(VALU_DEP_1) | instskip(SKIP_1) | instid1(VALU_DEP_2)
	v_div_scale_f64 v[6:7], null, v[34:35], v[34:35], 1.0
	v_div_scale_f64 v[36:37], vcc_lo, 1.0, v[34:35], 1.0
	v_rcp_f64_e32 v[28:29], v[6:7]
	s_waitcnt_depctr 0xfff
	v_fma_f64 v[30:31], -v[6:7], v[28:29], 1.0
	s_delay_alu instid0(VALU_DEP_1) | instskip(NEXT) | instid1(VALU_DEP_1)
	v_fma_f64 v[28:29], v[28:29], v[30:31], v[28:29]
	v_fma_f64 v[30:31], -v[6:7], v[28:29], 1.0
	s_delay_alu instid0(VALU_DEP_1) | instskip(NEXT) | instid1(VALU_DEP_1)
	v_fma_f64 v[38:39], v[28:29], v[30:31], v[28:29]
	v_mul_f64 v[40:41], v[36:37], v[38:39]
	s_delay_alu instid0(VALU_DEP_1)
	v_fma_f64 v[36:37], -v[6:7], v[40:41], v[36:37]
	ds_load_b128 v[28:31], v9
	ds_load_b128 v[6:9], v9 offset:4096
	s_waitcnt lgkmcnt(1)
	v_mul_f64 v[42:43], v[30:31], -v[18:19]
	v_mul_f64 v[44:45], v[16:17], v[30:31]
	s_waitcnt lgkmcnt(0)
	v_mul_f64 v[46:47], v[8:9], -v[26:27]
	v_mul_f64 v[48:49], v[24:25], v[8:9]
	v_mul_f64 v[50:51], v[3:4], -v[8:9]
	v_mul_f64 v[3:4], v[3:4], v[6:7]
	v_div_fmas_f64 v[36:37], v[36:37], v[38:39], v[40:41]
	v_mul_f64 v[38:39], v[22:23], v[28:29]
	v_mul_f64 v[22:23], v[22:23], -v[30:31]
	v_fma_f64 v[40:41], v[32:33], 0, -v[10:11]
	v_fma_f64 v[10:11], v[10:11], 0, v[32:33]
	v_fma_f64 v[16:17], v[16:17], v[28:29], v[42:43]
	;; [unrolled: 1-line block ×7, first 2 shown]
	v_div_fixup_f64 v[34:35], v[36:37], v[34:35], 1.0
	v_fma_f64 v[3:4], v[30:31], v[20:21], v[38:39]
	v_fma_f64 v[8:9], v[28:29], v[20:21], v[22:23]
	v_add_f64 v[16:17], v[16:17], -v[24:25]
	v_add_f64 v[18:19], v[18:19], -v[26:27]
	v_mul_f64 v[20:21], v[40:41], v[34:35]
	v_add_f64 v[3:4], v[1:2], -v[3:4]
	v_add_f64 v[1:2], v[6:7], -v[8:9]
	v_mul_f64 v[11:12], v[10:11], v[34:35]
	s_delay_alu instid0(VALU_DEP_4) | instskip(SKIP_3) | instid1(VALU_DEP_4)
	v_mul_f64 v[6:7], v[20:21], -v[18:19]
	v_mul_f64 v[9:10], v[20:21], v[16:17]
	v_mul_f64 v[22:23], v[20:21], -v[3:4]
	v_mul_f64 v[20:21], v[20:21], v[1:2]
	v_fma_f64 v[7:8], v[16:17], v[11:12], v[6:7]
	s_delay_alu instid0(VALU_DEP_4) | instskip(NEXT) | instid1(VALU_DEP_4)
	v_fma_f64 v[9:10], v[18:19], v[11:12], v[9:10]
	v_fma_f64 v[1:2], v[1:2], v[11:12], v[22:23]
	s_delay_alu instid0(VALU_DEP_4)
	v_fma_f64 v[3:4], v[3:4], v[11:12], v[20:21]
	v_mov_b32_e32 v6, v5
	ds_store_b128 v15, v[7:10] offset:24576
.LBB79_15:
	s_or_b32 exec_lo, exec_lo, s1
	s_delay_alu instid0(VALU_DEP_1)
	v_lshlrev_b32_e32 v5, 4, v6
	ds_store_b128 v5, v[1:4] offset:24576
.LBB79_16:
	s_or_b32 exec_lo, exec_lo, s0
	s_waitcnt lgkmcnt(0)
	s_barrier
	buffer_gl0_inv
	s_and_saveexec_b32 s0, s2
	s_cbranch_execz .LBB79_18
; %bb.17:
	v_lshl_or_b32 v0, v0, 4, 0x6000
	v_lshlrev_b64 v[4:5], 4, v[13:14]
	ds_load_2addr_b64 v[0:3], v0 offset1:1
	v_add_co_u32 v4, vcc_lo, s4, v4
	v_add_co_ci_u32_e32 v5, vcc_lo, s5, v5, vcc_lo
	s_waitcnt lgkmcnt(0)
	global_store_b128 v[4:5], v[0:3], off
.LBB79_18:
	s_nop 0
	s_sendmsg sendmsg(MSG_DEALLOC_VGPRS)
	s_endpgm
	.section	.rodata,"a",@progbits
	.p2align	6, 0x0
	.amdhsa_kernel _ZN9rocsparseL44gtsv_nopivot_strided_batch_pcr_shared_kernelILj512E21rocsparse_complex_numIdEEEviiiPKT0_S5_S5_PS3_
		.amdhsa_group_segment_fixed_size 40960
		.amdhsa_private_segment_fixed_size 0
		.amdhsa_kernarg_size 48
		.amdhsa_user_sgpr_count 15
		.amdhsa_user_sgpr_dispatch_ptr 0
		.amdhsa_user_sgpr_queue_ptr 0
		.amdhsa_user_sgpr_kernarg_segment_ptr 1
		.amdhsa_user_sgpr_dispatch_id 0
		.amdhsa_user_sgpr_private_segment_size 0
		.amdhsa_wavefront_size32 1
		.amdhsa_uses_dynamic_stack 0
		.amdhsa_enable_private_segment 0
		.amdhsa_system_sgpr_workgroup_id_x 1
		.amdhsa_system_sgpr_workgroup_id_y 0
		.amdhsa_system_sgpr_workgroup_id_z 0
		.amdhsa_system_sgpr_workgroup_info 0
		.amdhsa_system_vgpr_workitem_id 0
		.amdhsa_next_free_vgpr 64
		.amdhsa_next_free_sgpr 16
		.amdhsa_reserve_vcc 1
		.amdhsa_float_round_mode_32 0
		.amdhsa_float_round_mode_16_64 0
		.amdhsa_float_denorm_mode_32 3
		.amdhsa_float_denorm_mode_16_64 3
		.amdhsa_dx10_clamp 1
		.amdhsa_ieee_mode 1
		.amdhsa_fp16_overflow 0
		.amdhsa_workgroup_processor_mode 1
		.amdhsa_memory_ordered 1
		.amdhsa_forward_progress 0
		.amdhsa_shared_vgpr_count 0
		.amdhsa_exception_fp_ieee_invalid_op 0
		.amdhsa_exception_fp_denorm_src 0
		.amdhsa_exception_fp_ieee_div_zero 0
		.amdhsa_exception_fp_ieee_overflow 0
		.amdhsa_exception_fp_ieee_underflow 0
		.amdhsa_exception_fp_ieee_inexact 0
		.amdhsa_exception_int_div_zero 0
	.end_amdhsa_kernel
	.section	.text._ZN9rocsparseL44gtsv_nopivot_strided_batch_pcr_shared_kernelILj512E21rocsparse_complex_numIdEEEviiiPKT0_S5_S5_PS3_,"axG",@progbits,_ZN9rocsparseL44gtsv_nopivot_strided_batch_pcr_shared_kernelILj512E21rocsparse_complex_numIdEEEviiiPKT0_S5_S5_PS3_,comdat
.Lfunc_end79:
	.size	_ZN9rocsparseL44gtsv_nopivot_strided_batch_pcr_shared_kernelILj512E21rocsparse_complex_numIdEEEviiiPKT0_S5_S5_PS3_, .Lfunc_end79-_ZN9rocsparseL44gtsv_nopivot_strided_batch_pcr_shared_kernelILj512E21rocsparse_complex_numIdEEEviiiPKT0_S5_S5_PS3_
                                        ; -- End function
	.section	.AMDGPU.csdata,"",@progbits
; Kernel info:
; codeLenInByte = 2200
; NumSgprs: 18
; NumVgprs: 64
; ScratchSize: 0
; MemoryBound: 1
; FloatMode: 240
; IeeeMode: 1
; LDSByteSize: 40960 bytes/workgroup (compile time only)
; SGPRBlocks: 2
; VGPRBlocks: 7
; NumSGPRsForWavesPerEU: 18
; NumVGPRsForWavesPerEU: 64
; Occupancy: 12
; WaveLimiterHint : 0
; COMPUTE_PGM_RSRC2:SCRATCH_EN: 0
; COMPUTE_PGM_RSRC2:USER_SGPR: 15
; COMPUTE_PGM_RSRC2:TRAP_HANDLER: 0
; COMPUTE_PGM_RSRC2:TGID_X_EN: 1
; COMPUTE_PGM_RSRC2:TGID_Y_EN: 0
; COMPUTE_PGM_RSRC2:TGID_Z_EN: 0
; COMPUTE_PGM_RSRC2:TIDIG_COMP_CNT: 0
	.section	.text._ZN9rocsparseL49gtsv_nopivot_strided_batch_pcr_pow2_stage1_kernelILj256E21rocsparse_complex_numIdEEEviiiiPKT0_S5_S5_S5_PS3_S6_S6_S6_,"axG",@progbits,_ZN9rocsparseL49gtsv_nopivot_strided_batch_pcr_pow2_stage1_kernelILj256E21rocsparse_complex_numIdEEEviiiiPKT0_S5_S5_S5_PS3_S6_S6_S6_,comdat
	.globl	_ZN9rocsparseL49gtsv_nopivot_strided_batch_pcr_pow2_stage1_kernelILj256E21rocsparse_complex_numIdEEEviiiiPKT0_S5_S5_S5_PS3_S6_S6_S6_ ; -- Begin function _ZN9rocsparseL49gtsv_nopivot_strided_batch_pcr_pow2_stage1_kernelILj256E21rocsparse_complex_numIdEEEviiiiPKT0_S5_S5_S5_PS3_S6_S6_S6_
	.p2align	8
	.type	_ZN9rocsparseL49gtsv_nopivot_strided_batch_pcr_pow2_stage1_kernelILj256E21rocsparse_complex_numIdEEEviiiiPKT0_S5_S5_S5_PS3_S6_S6_S6_,@function
_ZN9rocsparseL49gtsv_nopivot_strided_batch_pcr_pow2_stage1_kernelILj256E21rocsparse_complex_numIdEEEviiiiPKT0_S5_S5_S5_PS3_S6_S6_S6_: ; @_ZN9rocsparseL49gtsv_nopivot_strided_batch_pcr_pow2_stage1_kernelILj256E21rocsparse_complex_numIdEEEviiiiPKT0_S5_S5_S5_PS3_S6_S6_S6_
; %bb.0:
	s_clause 0x3
	s_load_b64 s[24:25], s[0:1], 0x0
	s_load_b32 s10, s[0:1], 0xc
	s_load_b256 s[16:23], s[0:1], 0x30
	s_load_b256 s[0:7], s[0:1], 0x10
	v_lshl_or_b32 v8, s14, 8, v0
	s_waitcnt lgkmcnt(0)
	s_delay_alu instid0(VALU_DEP_1)
	v_dual_mov_b32 v1, 0 :: v_dual_add_nc_u32 v4, s24, v8
	s_mul_i32 s8, s15, s25
	v_subrev_nc_u32_e32 v0, s24, v8
	s_ashr_i32 s9, s8, 31
	s_add_i32 s28, s25, -1
	s_lshl_b64 s[26:27], s[8:9], 4
	s_mul_i32 s10, s15, s10
	s_add_u32 s8, s22, s26
	s_addc_u32 s9, s23, s27
	s_ashr_i32 s11, s10, 31
	v_max_i32_e32 v0, 0, v0
	s_lshl_b64 s[22:23], s[10:11], 4
	s_delay_alu instid0(SALU_CYCLE_1)
	s_add_u32 s10, s6, s22
	s_addc_u32 s11, s7, s23
	s_add_u32 s6, s20, s26
	s_addc_u32 s7, s21, s27
	v_lshlrev_b64 v[32:33], 4, v[0:1]
	s_add_u32 s12, s4, s22
	s_addc_u32 s13, s5, s23
	s_add_u32 s4, s18, s26
	s_addc_u32 s5, s19, s27
	;; [unrolled: 2-line block ×3, first 2 shown]
	v_add_co_u32 v0, vcc_lo, s14, v32
	v_add_co_ci_u32_e32 v1, vcc_lo, s15, v33, vcc_lo
	v_cmp_gt_i32_e32 vcc_lo, s25, v4
	s_add_u32 s2, s16, s26
	s_addc_u32 s3, s17, s27
	global_load_b128 v[0:3], v[0:1], off
	s_add_u32 s0, s0, s22
	v_cndmask_b32_e32 v4, s28, v4, vcc_lo
	s_addc_u32 s1, s1, s23
	s_delay_alu instid0(VALU_DEP_1) | instskip(NEXT) | instid1(VALU_DEP_1)
	v_ashrrev_i32_e32 v5, 31, v4
	v_lshlrev_b64 v[34:35], 4, v[4:5]
	s_delay_alu instid0(VALU_DEP_1) | instskip(NEXT) | instid1(VALU_DEP_2)
	v_add_co_u32 v4, vcc_lo, s14, v34
	v_add_co_ci_u32_e32 v5, vcc_lo, s15, v35, vcc_lo
	global_load_b128 v[4:7], v[4:5], off
	s_waitcnt vmcnt(1)
	v_mul_f64 v[9:10], v[2:3], v[2:3]
	s_waitcnt vmcnt(0)
	v_mul_f64 v[12:13], v[6:7], v[6:7]
	s_delay_alu instid0(VALU_DEP_2) | instskip(SKIP_1) | instid1(VALU_DEP_1)
	v_fma_f64 v[48:49], v[0:1], v[0:1], v[9:10]
	v_ashrrev_i32_e32 v9, 31, v8
	v_lshlrev_b64 v[50:51], 4, v[8:9]
	s_delay_alu instid0(VALU_DEP_1) | instskip(NEXT) | instid1(VALU_DEP_2)
	v_add_co_u32 v8, vcc_lo, s0, v50
	v_add_co_ci_u32_e32 v9, vcc_lo, s1, v51, vcc_lo
	global_load_b128 v[8:11], v[8:9], off
	v_fma_f64 v[52:53], v[4:5], v[4:5], v[12:13]
	v_add_co_u32 v12, vcc_lo, s12, v50
	v_add_co_ci_u32_e32 v13, vcc_lo, s13, v51, vcc_lo
	v_add_co_u32 v16, vcc_lo, s12, v32
	v_add_co_ci_u32_e32 v17, vcc_lo, s13, v33, vcc_lo
	global_load_b128 v[12:15], v[12:13], off
	v_add_co_u32 v20, vcc_lo, s10, v32
	v_add_co_ci_u32_e32 v21, vcc_lo, s11, v33, vcc_lo
	v_div_scale_f64 v[54:55], null, v[48:49], v[48:49], 1.0
	global_load_b128 v[16:19], v[16:17], off
	global_load_b128 v[20:23], v[20:21], off
	v_div_scale_f64 v[56:57], null, v[52:53], v[52:53], 1.0
	v_rcp_f64_e32 v[24:25], v[54:55]
	s_delay_alu instid0(VALU_DEP_1) | instskip(SKIP_3) | instid1(VALU_DEP_2)
	v_rcp_f64_e32 v[36:37], v[56:57]
	s_waitcnt_depctr 0xfff
	v_fma_f64 v[26:27], -v[54:55], v[24:25], 1.0
	v_fma_f64 v[38:39], -v[56:57], v[36:37], 1.0
	v_fma_f64 v[58:59], v[24:25], v[26:27], v[24:25]
	v_add_co_u32 v24, vcc_lo, s0, v34
	v_add_co_ci_u32_e32 v25, vcc_lo, s1, v35, vcc_lo
	v_add_co_u32 v28, vcc_lo, s10, v34
	v_add_co_ci_u32_e32 v29, vcc_lo, s11, v35, vcc_lo
	global_load_b128 v[24:27], v[24:25], off
	global_load_b128 v[28:31], v[28:29], off
	v_add_co_u32 v34, vcc_lo, s12, v34
	v_add_co_ci_u32_e32 v35, vcc_lo, s13, v35, vcc_lo
	v_fma_f64 v[60:61], v[36:37], v[38:39], v[36:37]
	v_add_co_u32 v36, vcc_lo, s0, v32
	v_add_co_ci_u32_e32 v37, vcc_lo, s1, v33, vcc_lo
	v_add_co_u32 v40, vcc_lo, s14, v50
	v_add_co_ci_u32_e32 v41, vcc_lo, s15, v51, vcc_lo
	;; [unrolled: 2-line block ×3, first 2 shown]
	global_load_b128 v[32:35], v[34:35], off
	global_load_b128 v[36:39], v[36:37], off
	v_fma_f64 v[62:63], -v[54:55], v[58:59], 1.0
	global_load_b128 v[40:43], v[40:41], off
	global_load_b128 v[44:47], v[44:45], off
	v_div_scale_f64 v[66:67], vcc_lo, 1.0, v[48:49], 1.0
	v_fma_f64 v[64:65], -v[56:57], v[60:61], 1.0
	v_fma_f64 v[58:59], v[58:59], v[62:63], v[58:59]
	v_div_scale_f64 v[62:63], s0, 1.0, v[52:53], 1.0
	s_delay_alu instid0(VALU_DEP_3) | instskip(NEXT) | instid1(VALU_DEP_3)
	v_fma_f64 v[60:61], v[60:61], v[64:65], v[60:61]
	v_mul_f64 v[64:65], v[66:67], v[58:59]
	s_delay_alu instid0(VALU_DEP_2) | instskip(NEXT) | instid1(VALU_DEP_2)
	v_mul_f64 v[68:69], v[62:63], v[60:61]
	v_fma_f64 v[54:55], -v[54:55], v[64:65], v[66:67]
	s_delay_alu instid0(VALU_DEP_2) | instskip(SKIP_3) | instid1(VALU_DEP_4)
	v_fma_f64 v[56:57], -v[56:57], v[68:69], v[62:63]
	s_waitcnt vmcnt(9)
	v_mul_f64 v[62:63], v[2:3], -v[8:9]
	v_mul_f64 v[2:3], v[2:3], v[10:11]
	v_div_fmas_f64 v[54:55], v[54:55], v[58:59], v[64:65]
	s_mov_b32 vcc_lo, s0
	s_waitcnt vmcnt(8)
	v_mul_f64 v[58:59], v[6:7], -v[12:13]
	v_mul_f64 v[6:7], v[6:7], v[14:15]
	v_div_fmas_f64 v[56:57], v[56:57], v[60:61], v[68:69]
	v_fma_f64 v[10:11], v[10:11], v[0:1], v[62:63]
	v_fma_f64 v[0:1], v[8:9], v[0:1], v[2:3]
	v_div_fixup_f64 v[48:49], v[54:55], v[48:49], 1.0
	v_fma_f64 v[14:15], v[14:15], v[4:5], v[58:59]
	v_fma_f64 v[4:5], v[12:13], v[4:5], v[6:7]
	v_div_fixup_f64 v[52:53], v[56:57], v[52:53], 1.0
	s_delay_alu instid0(VALU_DEP_4) | instskip(SKIP_1) | instid1(VALU_DEP_3)
	v_mul_f64 v[2:3], v[48:49], v[10:11]
	v_mul_f64 v[8:9], v[48:49], v[0:1]
	;; [unrolled: 1-line block ×4, first 2 shown]
	s_waitcnt vmcnt(7)
	s_delay_alu instid0(VALU_DEP_4)
	v_mul_f64 v[0:1], v[2:3], -v[18:19]
	v_mul_f64 v[10:11], v[2:3], v[16:17]
	s_waitcnt vmcnt(6)
	v_mul_f64 v[12:13], v[2:3], -v[22:23]
	v_mul_f64 v[14:15], v[2:3], v[20:21]
	s_waitcnt vmcnt(5)
	;; [unrolled: 3-line block ×3, first 2 shown]
	v_mul_f64 v[54:55], v[6:7], -v[30:31]
	v_mul_f64 v[56:57], v[28:29], v[6:7]
	v_fma_f64 v[0:1], v[16:17], v[8:9], v[0:1]
	v_fma_f64 v[10:11], v[18:19], v[8:9], v[10:11]
	;; [unrolled: 1-line block ×4, first 2 shown]
	s_waitcnt vmcnt(3)
	v_mul_f64 v[18:19], v[6:7], v[34:35]
	s_waitcnt vmcnt(2)
	v_mul_f64 v[16:17], v[2:3], v[38:39]
	v_mul_f64 v[2:3], v[2:3], -v[36:37]
	v_mul_f64 v[6:7], v[6:7], -v[32:33]
	v_fma_f64 v[20:21], v[24:25], v[48:49], v[4:5]
	v_fma_f64 v[22:23], v[26:27], v[48:49], v[52:53]
	;; [unrolled: 1-line block ×4, first 2 shown]
	s_waitcnt vmcnt(1)
	v_add_f64 v[28:29], v[40:41], -v[0:1]
	v_add_f64 v[10:11], v[42:43], -v[10:11]
	s_waitcnt vmcnt(0)
	v_add_f64 v[12:13], v[44:45], -v[12:13]
	v_add_f64 v[14:15], v[46:47], -v[14:15]
	v_fma_f64 v[4:5], -v[32:33], v[48:49], v[18:19]
	v_fma_f64 v[0:1], -v[36:37], v[8:9], v[16:17]
	;; [unrolled: 1-line block ×4, first 2 shown]
	v_add_co_u32 v16, vcc_lo, s8, v50
	v_add_co_ci_u32_e32 v17, vcc_lo, s9, v51, vcc_lo
	v_add_co_u32 v18, vcc_lo, s4, v50
	v_add_co_ci_u32_e32 v19, vcc_lo, s5, v51, vcc_lo
	v_add_f64 v[8:9], v[28:29], -v[20:21]
	v_add_f64 v[10:11], v[10:11], -v[22:23]
	;; [unrolled: 1-line block ×4, first 2 shown]
	v_add_co_u32 v20, vcc_lo, s2, v50
	v_add_co_ci_u32_e32 v21, vcc_lo, s3, v51, vcc_lo
	v_add_co_u32 v22, vcc_lo, s6, v50
	v_add_co_ci_u32_e32 v23, vcc_lo, s7, v51, vcc_lo
	global_store_b128 v[20:21], v[0:3], off
	global_store_b128 v[18:19], v[8:11], off
	;; [unrolled: 1-line block ×4, first 2 shown]
	s_nop 0
	s_sendmsg sendmsg(MSG_DEALLOC_VGPRS)
	s_endpgm
	.section	.rodata,"a",@progbits
	.p2align	6, 0x0
	.amdhsa_kernel _ZN9rocsparseL49gtsv_nopivot_strided_batch_pcr_pow2_stage1_kernelILj256E21rocsparse_complex_numIdEEEviiiiPKT0_S5_S5_S5_PS3_S6_S6_S6_
		.amdhsa_group_segment_fixed_size 0
		.amdhsa_private_segment_fixed_size 0
		.amdhsa_kernarg_size 80
		.amdhsa_user_sgpr_count 14
		.amdhsa_user_sgpr_dispatch_ptr 0
		.amdhsa_user_sgpr_queue_ptr 0
		.amdhsa_user_sgpr_kernarg_segment_ptr 1
		.amdhsa_user_sgpr_dispatch_id 0
		.amdhsa_user_sgpr_private_segment_size 0
		.amdhsa_wavefront_size32 1
		.amdhsa_uses_dynamic_stack 0
		.amdhsa_enable_private_segment 0
		.amdhsa_system_sgpr_workgroup_id_x 1
		.amdhsa_system_sgpr_workgroup_id_y 1
		.amdhsa_system_sgpr_workgroup_id_z 0
		.amdhsa_system_sgpr_workgroup_info 0
		.amdhsa_system_vgpr_workitem_id 0
		.amdhsa_next_free_vgpr 70
		.amdhsa_next_free_sgpr 29
		.amdhsa_reserve_vcc 1
		.amdhsa_float_round_mode_32 0
		.amdhsa_float_round_mode_16_64 0
		.amdhsa_float_denorm_mode_32 3
		.amdhsa_float_denorm_mode_16_64 3
		.amdhsa_dx10_clamp 1
		.amdhsa_ieee_mode 1
		.amdhsa_fp16_overflow 0
		.amdhsa_workgroup_processor_mode 1
		.amdhsa_memory_ordered 1
		.amdhsa_forward_progress 0
		.amdhsa_shared_vgpr_count 0
		.amdhsa_exception_fp_ieee_invalid_op 0
		.amdhsa_exception_fp_denorm_src 0
		.amdhsa_exception_fp_ieee_div_zero 0
		.amdhsa_exception_fp_ieee_overflow 0
		.amdhsa_exception_fp_ieee_underflow 0
		.amdhsa_exception_fp_ieee_inexact 0
		.amdhsa_exception_int_div_zero 0
	.end_amdhsa_kernel
	.section	.text._ZN9rocsparseL49gtsv_nopivot_strided_batch_pcr_pow2_stage1_kernelILj256E21rocsparse_complex_numIdEEEviiiiPKT0_S5_S5_S5_PS3_S6_S6_S6_,"axG",@progbits,_ZN9rocsparseL49gtsv_nopivot_strided_batch_pcr_pow2_stage1_kernelILj256E21rocsparse_complex_numIdEEEviiiiPKT0_S5_S5_S5_PS3_S6_S6_S6_,comdat
.Lfunc_end80:
	.size	_ZN9rocsparseL49gtsv_nopivot_strided_batch_pcr_pow2_stage1_kernelILj256E21rocsparse_complex_numIdEEEviiiiPKT0_S5_S5_S5_PS3_S6_S6_S6_, .Lfunc_end80-_ZN9rocsparseL49gtsv_nopivot_strided_batch_pcr_pow2_stage1_kernelILj256E21rocsparse_complex_numIdEEEviiiiPKT0_S5_S5_S5_PS3_S6_S6_S6_
                                        ; -- End function
	.section	.AMDGPU.csdata,"",@progbits
; Kernel info:
; codeLenInByte = 1184
; NumSgprs: 31
; NumVgprs: 70
; ScratchSize: 0
; MemoryBound: 0
; FloatMode: 240
; IeeeMode: 1
; LDSByteSize: 0 bytes/workgroup (compile time only)
; SGPRBlocks: 3
; VGPRBlocks: 8
; NumSGPRsForWavesPerEU: 31
; NumVGPRsForWavesPerEU: 70
; Occupancy: 16
; WaveLimiterHint : 0
; COMPUTE_PGM_RSRC2:SCRATCH_EN: 0
; COMPUTE_PGM_RSRC2:USER_SGPR: 14
; COMPUTE_PGM_RSRC2:TRAP_HANDLER: 0
; COMPUTE_PGM_RSRC2:TGID_X_EN: 1
; COMPUTE_PGM_RSRC2:TGID_Y_EN: 1
; COMPUTE_PGM_RSRC2:TGID_Z_EN: 0
; COMPUTE_PGM_RSRC2:TIDIG_COMP_CNT: 0
	.section	.text._ZN9rocsparseL48gtsv_nopivot_strided_batch_cr_pow2_stage2_kernelILj256E21rocsparse_complex_numIdEEEviiiPKT0_S5_S5_S5_PS3_,"axG",@progbits,_ZN9rocsparseL48gtsv_nopivot_strided_batch_cr_pow2_stage2_kernelILj256E21rocsparse_complex_numIdEEEviiiPKT0_S5_S5_S5_PS3_,comdat
	.globl	_ZN9rocsparseL48gtsv_nopivot_strided_batch_cr_pow2_stage2_kernelILj256E21rocsparse_complex_numIdEEEviiiPKT0_S5_S5_S5_PS3_ ; -- Begin function _ZN9rocsparseL48gtsv_nopivot_strided_batch_cr_pow2_stage2_kernelILj256E21rocsparse_complex_numIdEEEviiiPKT0_S5_S5_S5_PS3_
	.p2align	8
	.type	_ZN9rocsparseL48gtsv_nopivot_strided_batch_cr_pow2_stage2_kernelILj256E21rocsparse_complex_numIdEEEviiiPKT0_S5_S5_S5_PS3_,@function
_ZN9rocsparseL48gtsv_nopivot_strided_batch_cr_pow2_stage2_kernelILj256E21rocsparse_complex_numIdEEEviiiPKT0_S5_S5_S5_PS3_: ; @_ZN9rocsparseL48gtsv_nopivot_strided_batch_cr_pow2_stage2_kernelILj256E21rocsparse_complex_numIdEEEviiiPKT0_S5_S5_S5_PS3_
; %bb.0:
	s_clause 0x2
	s_load_b32 s2, s[0:1], 0x38
	s_load_b32 s3, s[0:1], 0x0
	s_load_b256 s[4:11], s[0:1], 0x10
	s_waitcnt lgkmcnt(0)
	v_mad_u64_u32 v[5:6], null, s2, v0, s[14:15]
	s_mul_i32 s3, s15, s3
	s_delay_alu instid0(VALU_DEP_1) | instid1(SALU_CYCLE_1)
	v_dual_mov_b32 v2, 0 :: v_dual_add_nc_u32 v1, s3, v5
	v_lshl_add_u32 v6, s2, 8, v5
	s_delay_alu instid0(VALU_DEP_2) | instskip(NEXT) | instid1(VALU_DEP_2)
	v_lshlrev_b64 v[3:4], 4, v[1:2]
	v_add_nc_u32_e32 v1, s3, v6
	s_mov_b32 s3, 8
	s_delay_alu instid0(VALU_DEP_1) | instskip(NEXT) | instid1(VALU_DEP_3)
	v_lshlrev_b64 v[1:2], 4, v[1:2]
	v_add_co_u32 v7, vcc_lo, s4, v3
	s_delay_alu instid0(VALU_DEP_4)
	v_add_co_ci_u32_e32 v8, vcc_lo, s5, v4, vcc_lo
	v_add_co_u32 v13, vcc_lo, s6, v3
	v_add_co_ci_u32_e32 v14, vcc_lo, s7, v4, vcc_lo
	v_add_co_u32 v17, vcc_lo, s8, v3
	;; [unrolled: 2-line block ×3, first 2 shown]
	v_add_co_ci_u32_e32 v4, vcc_lo, s11, v4, vcc_lo
	global_load_b128 v[9:12], v[7:8], off
	global_load_b128 v[13:16], v[13:14], off
	;; [unrolled: 1-line block ×4, first 2 shown]
	v_add_co_u32 v3, vcc_lo, s4, v1
	v_add_co_ci_u32_e32 v4, vcc_lo, s5, v2, vcc_lo
	v_add_co_u32 v7, vcc_lo, s6, v1
	v_add_co_ci_u32_e32 v8, vcc_lo, s7, v2, vcc_lo
	;; [unrolled: 2-line block ×4, first 2 shown]
	global_load_b128 v[25:28], v[3:4], off
	global_load_b128 v[29:32], v[7:8], off
	;; [unrolled: 1-line block ×4, first 2 shown]
	s_load_b64 s[4:5], s[0:1], 0x30
	s_mov_b32 s8, 0
	v_add_nc_u32_e32 v1, 1, v0
	s_mov_b32 s9, s8
	s_mov_b32 s10, s8
	;; [unrolled: 1-line block ×3, first 2 shown]
	v_lshlrev_b32_e32 v2, 4, v0
	v_dual_mov_b32 v44, s11 :: v_dual_mov_b32 v43, s10
	s_mov_b32 s6, 1
	s_movk_i32 s7, 0x100
	s_delay_alu instid0(VALU_DEP_2)
	v_or_b32_e32 v4, 0x4000, v2
	v_or_b32_e32 v8, 0x6000, v2
	;; [unrolled: 1-line block ×4, first 2 shown]
	v_dual_mov_b32 v42, s9 :: v_dual_mov_b32 v41, s8
	v_or_b32_e32 v3, 0x2000, v2
	v_or_b32_e32 v46, 0x1000, v2
	v_or_b32_e32 v47, 0x3000, v2
	v_or_b32_e32 v48, 0x5000, v2
	v_or_b32_e32 v49, 0x9000, v2
	s_waitcnt vmcnt(5)
	ds_store_2addr_b64 v4, v[17:18], v[19:20] offset1:1
	s_waitcnt vmcnt(4)
	ds_store_2addr_b64 v45, v[21:22], v[23:24] offset1:1
	ds_store_2addr_b64 v2, v[9:10], v[11:12] offset1:1
	ds_store_b128 v2, v[41:44] offset:24576
	ds_store_2addr_b64 v3, v[13:14], v[15:16] offset1:1
	ds_store_b128 v2, v[41:44] offset:28672
	s_waitcnt vmcnt(3)
	ds_store_2addr_b64 v46, v[25:26], v[27:28] offset1:1
	s_waitcnt vmcnt(2)
	ds_store_2addr_b64 v47, v[29:30], v[31:32] offset1:1
	;; [unrolled: 2-line block ×4, first 2 shown]
	s_waitcnt lgkmcnt(0)
	s_barrier
	buffer_gl0_inv
	s_branch .LBB81_2
.LBB81_1:                               ;   in Loop: Header=BB81_2 Depth=1
	s_or_b32 exec_lo, exec_lo, s8
	s_add_i32 s3, s3, -1
	s_lshr_b32 s7, s7, 1
	s_cmp_eq_u32 s3, 0
	s_waitcnt lgkmcnt(0)
	s_barrier
	buffer_gl0_inv
	s_cbranch_scc1 .LBB81_4
.LBB81_2:                               ; =>This Inner Loop Header: Depth=1
	s_lshl_b32 s6, s6, 1
	s_mov_b32 s8, exec_lo
	v_cmpx_gt_u32_e64 s7, v0
	s_cbranch_execz .LBB81_1
; %bb.3:                                ;   in Loop: Header=BB81_2 Depth=1
	v_mad_u64_u32 v[2:3], null, s6, v1, -1
	s_ashr_i32 s2, s6, 1
	s_delay_alu instid0(VALU_DEP_1) | instid1(SALU_CYCLE_1)
	v_subrev_nc_u32_e32 v3, s2, v2
	v_add_nc_u32_e32 v17, s2, v2
	v_lshlrev_b32_e32 v63, 4, v2
	s_delay_alu instid0(VALU_DEP_3) | instskip(NEXT) | instid1(VALU_DEP_3)
	v_lshlrev_b32_e32 v55, 4, v3
	v_min_u32_e32 v17, 0x1ff, v17
	ds_load_b128 v[9:12], v55 offset:8192
	ds_load_b128 v[13:16], v55 offset:16384
	v_lshlrev_b32_e32 v57, 4, v17
	ds_load_b128 v[17:20], v57 offset:8192
	ds_load_b128 v[21:24], v57 offset:16384
	s_waitcnt lgkmcnt(3)
	v_mul_f64 v[3:4], v[11:12], v[11:12]
	s_waitcnt lgkmcnt(1)
	v_mul_f64 v[25:26], v[19:20], v[19:20]
	s_delay_alu instid0(VALU_DEP_2) | instskip(NEXT) | instid1(VALU_DEP_2)
	v_fma_f64 v[3:4], v[9:10], v[9:10], v[3:4]
	v_fma_f64 v[41:42], v[17:18], v[17:18], v[25:26]
	s_delay_alu instid0(VALU_DEP_2) | instskip(SKIP_1) | instid1(VALU_DEP_3)
	v_div_scale_f64 v[25:26], null, v[3:4], v[3:4], 1.0
	v_div_scale_f64 v[37:38], vcc_lo, 1.0, v[3:4], 1.0
	v_div_scale_f64 v[33:34], null, v[41:42], v[41:42], 1.0
	v_div_scale_f64 v[43:44], s2, 1.0, v[41:42], 1.0
	s_delay_alu instid0(VALU_DEP_4) | instskip(NEXT) | instid1(VALU_DEP_2)
	v_rcp_f64_e32 v[27:28], v[25:26]
	v_rcp_f64_e32 v[29:30], v[33:34]
	s_waitcnt_depctr 0xfff
	v_fma_f64 v[31:32], -v[25:26], v[27:28], 1.0
	v_fma_f64 v[35:36], -v[33:34], v[29:30], 1.0
	s_delay_alu instid0(VALU_DEP_2) | instskip(NEXT) | instid1(VALU_DEP_2)
	v_fma_f64 v[27:28], v[27:28], v[31:32], v[27:28]
	v_fma_f64 v[29:30], v[29:30], v[35:36], v[29:30]
	s_delay_alu instid0(VALU_DEP_2) | instskip(NEXT) | instid1(VALU_DEP_2)
	v_fma_f64 v[31:32], -v[25:26], v[27:28], 1.0
	v_fma_f64 v[35:36], -v[33:34], v[29:30], 1.0
	s_delay_alu instid0(VALU_DEP_2) | instskip(NEXT) | instid1(VALU_DEP_2)
	v_fma_f64 v[39:40], v[27:28], v[31:32], v[27:28]
	v_fma_f64 v[45:46], v[29:30], v[35:36], v[29:30]
	s_delay_alu instid0(VALU_DEP_2) | instskip(NEXT) | instid1(VALU_DEP_2)
	v_mul_f64 v[35:36], v[37:38], v[39:40]
	v_mul_f64 v[47:48], v[43:44], v[45:46]
	s_delay_alu instid0(VALU_DEP_2)
	v_fma_f64 v[37:38], -v[25:26], v[35:36], v[37:38]
	ds_load_b128 v[25:28], v63
	ds_load_b128 v[29:32], v63 offset:32768
	v_fma_f64 v[43:44], -v[33:34], v[47:48], v[43:44]
	s_waitcnt lgkmcnt(1)
	v_mul_f64 v[49:50], v[11:12], -v[25:26]
	v_mul_f64 v[11:12], v[11:12], v[27:28]
	v_div_fmas_f64 v[51:52], v[37:38], v[39:40], v[35:36]
	ds_load_b128 v[33:36], v63 offset:16384
	ds_load_b128 v[37:40], v63 offset:8192
	s_mov_b32 vcc_lo, s2
	v_div_fmas_f64 v[43:44], v[43:44], v[45:46], v[47:48]
	s_waitcnt lgkmcnt(1)
	v_mul_f64 v[53:54], v[19:20], -v[33:34]
	v_fma_f64 v[27:28], v[27:28], v[9:10], v[49:50]
	v_mul_f64 v[19:20], v[19:20], v[35:36]
	v_fma_f64 v[25:26], v[25:26], v[9:10], v[11:12]
	ds_load_b128 v[9:12], v55 offset:32768
	v_div_fixup_f64 v[2:3], v[51:52], v[3:4], 1.0
	v_div_fixup_f64 v[41:42], v[43:44], v[41:42], 1.0
	v_fma_f64 v[35:36], v[35:36], v[17:18], v[53:54]
	v_fma_f64 v[45:46], v[33:34], v[17:18], v[19:20]
	ds_load_b128 v[17:20], v55
	v_mul_f64 v[43:44], v[2:3], v[27:28]
	v_mul_f64 v[2:3], v[2:3], v[25:26]
	;; [unrolled: 1-line block ×3, first 2 shown]
	ds_load_b128 v[25:28], v57
	ds_load_b128 v[33:36], v57 offset:32768
	v_mul_f64 v[41:42], v[41:42], v[45:46]
	s_waitcnt lgkmcnt(3)
	v_mul_f64 v[49:50], v[43:44], -v[11:12]
	v_mul_f64 v[51:52], v[43:44], v[9:10]
	v_mul_f64 v[53:54], v[43:44], -v[15:16]
	v_mul_f64 v[55:56], v[43:44], v[13:14]
	s_waitcnt lgkmcnt(0)
	v_mul_f64 v[59:60], v[47:48], -v[35:36]
	v_mul_f64 v[61:62], v[47:48], v[33:34]
	v_mul_f64 v[45:46], v[47:48], -v[27:28]
	v_mul_f64 v[57:58], v[47:48], v[25:26]
	v_fma_f64 v[9:10], v[9:10], v[2:3], v[49:50]
	v_fma_f64 v[11:12], v[11:12], v[2:3], v[51:52]
	;; [unrolled: 1-line block ×4, first 2 shown]
	v_mul_f64 v[49:50], v[43:44], v[19:20]
	v_mul_f64 v[43:44], v[43:44], -v[17:18]
	v_mul_f64 v[51:52], v[47:48], v[23:24]
	v_fma_f64 v[33:34], v[33:34], v[41:42], v[59:60]
	v_fma_f64 v[35:36], v[35:36], v[41:42], v[61:62]
	;; [unrolled: 1-line block ×4, first 2 shown]
	v_add_f64 v[29:30], v[29:30], -v[9:10]
	v_add_f64 v[31:32], v[31:32], -v[11:12]
	;; [unrolled: 1-line block ×4, first 2 shown]
	v_mul_f64 v[39:40], v[47:48], -v[21:22]
	v_fma_f64 v[9:10], -v[17:18], v[2:3], v[49:50]
	v_fma_f64 v[11:12], -v[19:20], v[2:3], v[43:44]
	;; [unrolled: 1-line block ×3, first 2 shown]
	v_add_f64 v[17:18], v[29:30], -v[33:34]
	v_add_f64 v[19:20], v[31:32], -v[35:36]
	;; [unrolled: 1-line block ×4, first 2 shown]
	v_fma_f64 v[15:16], -v[23:24], v[41:42], v[39:40]
	ds_store_b128 v63, v[17:20] offset:32768
	ds_store_b128 v63, v[9:12]
	ds_store_b128 v63, v[25:28] offset:8192
	ds_store_b128 v63, v[13:16] offset:16384
	s_branch .LBB81_1
.LBB81_4:
	s_mov_b32 s2, exec_lo
	v_cmpx_eq_u32_e32 0, v0
	s_cbranch_execz .LBB81_6
; %bb.5:
	v_mov_b32_e32 v51, 0
	ds_load_b128 v[1:4], v51 offset:12272
	ds_load_b128 v[9:12], v51 offset:8176
	;; [unrolled: 1-line block ×4, first 2 shown]
	s_waitcnt lgkmcnt(1)
	v_mul_f64 v[21:22], v[3:4], v[13:14]
	s_waitcnt lgkmcnt(0)
	v_mul_f64 v[23:24], v[11:12], v[17:18]
	v_mul_f64 v[25:26], v[3:4], -v[15:16]
	v_mul_f64 v[27:28], v[11:12], -v[19:20]
	s_delay_alu instid0(VALU_DEP_4) | instskip(NEXT) | instid1(VALU_DEP_4)
	v_fma_f64 v[21:22], v[15:16], v[1:2], v[21:22]
	v_fma_f64 v[23:24], v[19:20], v[9:10], v[23:24]
	s_delay_alu instid0(VALU_DEP_4) | instskip(NEXT) | instid1(VALU_DEP_4)
	v_fma_f64 v[25:26], v[13:14], v[1:2], v[25:26]
	v_fma_f64 v[27:28], v[17:18], v[9:10], v[27:28]
	s_delay_alu instid0(VALU_DEP_3) | instskip(NEXT) | instid1(VALU_DEP_2)
	v_add_f64 v[29:30], v[21:22], -v[23:24]
	v_add_f64 v[31:32], v[25:26], -v[27:28]
	s_delay_alu instid0(VALU_DEP_2) | instskip(NEXT) | instid1(VALU_DEP_1)
	v_mul_f64 v[21:22], v[29:30], v[29:30]
	v_fma_f64 v[33:34], v[31:32], v[31:32], v[21:22]
	s_delay_alu instid0(VALU_DEP_1) | instskip(SKIP_1) | instid1(VALU_DEP_2)
	v_div_scale_f64 v[21:22], null, v[33:34], v[33:34], 1.0
	v_div_scale_f64 v[27:28], vcc_lo, 1.0, v[33:34], 1.0
	v_rcp_f64_e32 v[23:24], v[21:22]
	s_waitcnt_depctr 0xfff
	v_fma_f64 v[25:26], -v[21:22], v[23:24], 1.0
	s_delay_alu instid0(VALU_DEP_1) | instskip(NEXT) | instid1(VALU_DEP_1)
	v_fma_f64 v[23:24], v[23:24], v[25:26], v[23:24]
	v_fma_f64 v[25:26], -v[21:22], v[23:24], 1.0
	s_delay_alu instid0(VALU_DEP_1) | instskip(NEXT) | instid1(VALU_DEP_1)
	v_fma_f64 v[35:36], v[23:24], v[25:26], v[23:24]
	v_mul_f64 v[37:38], v[27:28], v[35:36]
	s_delay_alu instid0(VALU_DEP_1)
	v_fma_f64 v[39:40], -v[21:22], v[37:38], v[27:28]
	ds_load_b128 v[21:24], v51 offset:36848
	ds_load_b128 v[25:28], v51 offset:40944
	s_waitcnt lgkmcnt(1)
	v_mul_f64 v[41:42], v[23:24], -v[15:16]
	v_mul_f64 v[43:44], v[13:14], v[23:24]
	s_waitcnt lgkmcnt(0)
	v_mul_f64 v[45:46], v[27:28], -v[19:20]
	v_mul_f64 v[47:48], v[17:18], v[27:28]
	v_mul_f64 v[49:50], v[3:4], -v[27:28]
	v_mul_f64 v[3:4], v[3:4], v[25:26]
	v_div_fmas_f64 v[35:36], v[39:40], v[35:36], v[37:38]
	v_mul_f64 v[37:38], v[11:12], v[21:22]
	v_mul_f64 v[11:12], v[11:12], -v[23:24]
	v_fma_f64 v[39:40], v[31:32], 0, -v[29:30]
	v_fma_f64 v[13:14], v[13:14], v[21:22], v[41:42]
	v_fma_f64 v[15:16], v[15:16], v[21:22], v[43:44]
	;; [unrolled: 1-line block ×6, first 2 shown]
	v_div_fixup_f64 v[33:34], v[35:36], v[33:34], 1.0
	v_fma_f64 v[3:4], v[23:24], v[9:10], v[37:38]
	v_fma_f64 v[9:10], v[21:22], v[9:10], v[11:12]
	v_add_f64 v[13:14], v[13:14], -v[17:18]
	v_add_f64 v[11:12], v[15:16], -v[19:20]
	v_fma_f64 v[15:16], v[29:30], 0, v[31:32]
	v_mul_f64 v[19:20], v[39:40], v[33:34]
	v_add_f64 v[17:18], v[1:2], -v[3:4]
	v_add_f64 v[9:10], v[25:26], -v[9:10]
	s_delay_alu instid0(VALU_DEP_4) | instskip(NEXT) | instid1(VALU_DEP_4)
	v_mul_f64 v[15:16], v[15:16], v[33:34]
	v_mul_f64 v[1:2], v[19:20], -v[11:12]
	v_mul_f64 v[3:4], v[19:20], v[13:14]
	v_mul_f64 v[21:22], v[19:20], -v[17:18]
	v_mul_f64 v[19:20], v[19:20], v[9:10]
	s_delay_alu instid0(VALU_DEP_4) | instskip(NEXT) | instid1(VALU_DEP_4)
	v_fma_f64 v[1:2], v[13:14], v[15:16], v[1:2]
	v_fma_f64 v[3:4], v[11:12], v[15:16], v[3:4]
	s_delay_alu instid0(VALU_DEP_4) | instskip(NEXT) | instid1(VALU_DEP_4)
	v_fma_f64 v[9:10], v[9:10], v[15:16], v[21:22]
	v_fma_f64 v[11:12], v[17:18], v[15:16], v[19:20]
	ds_store_b128 v51, v[1:4] offset:28656
	ds_store_b128 v51, v[9:12] offset:32752
.LBB81_6:
	s_or_b32 exec_lo, exec_lo, s2
	v_mov_b32_e32 v1, 0x100
	s_mov_b32 s2, 2
	s_mov_b32 s3, 8
	s_branch .LBB81_9
.LBB81_7:                               ;   in Loop: Header=BB81_9 Depth=1
	s_or_b32 exec_lo, exec_lo, s7
	s_waitcnt lgkmcnt(0)
	v_mov_b32_e32 v1, v9
.LBB81_8:                               ;   in Loop: Header=BB81_9 Depth=1
	s_or_b32 exec_lo, exec_lo, s6
	s_add_i32 s3, s3, -1
	s_lshl_b32 s2, s2, 1
	s_cmp_eq_u32 s3, 0
	s_cbranch_scc1 .LBB81_16
.LBB81_9:                               ; =>This Inner Loop Header: Depth=1
	s_delay_alu instid0(VALU_DEP_1)
	v_ashrrev_i32_e32 v9, 1, v1
	s_mov_b32 s6, exec_lo
	s_waitcnt lgkmcnt(0)
	s_barrier
	buffer_gl0_inv
	v_cmpx_le_u32_e64 s2, v0
	s_xor_b32 s6, exec_lo, s6
; %bb.10:                               ;   in Loop: Header=BB81_9 Depth=1
	v_ashrrev_i32_e32 v1, 1, v1
                                        ; implicit-def: $vgpr9
; %bb.11:                               ;   in Loop: Header=BB81_9 Depth=1
	s_and_not1_saveexec_b32 s6, s6
	s_cbranch_execz .LBB81_8
; %bb.12:                               ;   in Loop: Header=BB81_9 Depth=1
	s_delay_alu instid0(VALU_DEP_1) | instskip(SKIP_2) | instid1(VALU_DEP_1)
	v_mul_lo_u32 v2, v1, v0
	v_lshrrev_b32_e32 v1, 1, v1
	s_mov_b32 s7, exec_lo
	v_add3_u32 v11, v1, v2, -1
	s_delay_alu instid0(VALU_DEP_1)
	v_lshlrev_b32_e32 v10, 4, v11
	v_sub_nc_u32_e32 v12, v11, v9
	v_add_nc_u32_e32 v11, v11, v9
	ds_load_b128 v[1:4], v10 offset:32768
	v_lshlrev_b32_e32 v11, 4, v11
	v_cmpx_lt_i32_e32 -1, v12
	s_xor_b32 s7, exec_lo, s7
	s_cbranch_execz .LBB81_14
; %bb.13:                               ;   in Loop: Header=BB81_9 Depth=1
	ds_load_b128 v[13:16], v10 offset:8192
	v_lshlrev_b32_e32 v12, 4, v12
	s_waitcnt lgkmcnt(0)
	v_mul_f64 v[17:18], v[15:16], v[15:16]
	s_delay_alu instid0(VALU_DEP_1) | instskip(NEXT) | instid1(VALU_DEP_1)
	v_fma_f64 v[33:34], v[13:14], v[13:14], v[17:18]
	v_div_scale_f64 v[35:36], null, v[33:34], v[33:34], 1.0
	s_delay_alu instid0(VALU_DEP_1) | instskip(SKIP_2) | instid1(VALU_DEP_1)
	v_rcp_f64_e32 v[17:18], v[35:36]
	s_waitcnt_depctr 0xfff
	v_fma_f64 v[19:20], -v[35:36], v[17:18], 1.0
	v_fma_f64 v[37:38], v[17:18], v[19:20], v[17:18]
	ds_load_b128 v[17:20], v10
	ds_load_b128 v[21:24], v12 offset:24576
	ds_load_b128 v[25:28], v11 offset:24576
	;; [unrolled: 1-line block ×3, first 2 shown]
	s_waitcnt lgkmcnt(2)
	v_mul_f64 v[11:12], v[23:24], v[17:18]
	v_mul_f64 v[23:24], v[23:24], -v[19:20]
	s_waitcnt lgkmcnt(0)
	v_mul_f64 v[41:42], v[27:28], -v[31:32]
	v_mul_f64 v[27:28], v[27:28], v[29:30]
	v_fma_f64 v[39:40], -v[35:36], v[37:38], 1.0
	v_fma_f64 v[11:12], v[19:20], v[21:22], v[11:12]
	v_div_scale_f64 v[19:20], vcc_lo, 1.0, v[33:34], 1.0
	v_fma_f64 v[17:18], v[17:18], v[21:22], v[23:24]
	v_fma_f64 v[21:22], v[31:32], v[25:26], v[27:28]
	;; [unrolled: 1-line block ×3, first 2 shown]
	v_add_f64 v[3:4], v[3:4], -v[11:12]
	v_fma_f64 v[11:12], v[29:30], v[25:26], v[41:42]
	v_add_f64 v[1:2], v[1:2], -v[17:18]
	s_delay_alu instid0(VALU_DEP_4) | instskip(NEXT) | instid1(VALU_DEP_4)
	v_mul_f64 v[23:24], v[19:20], v[37:38]
	v_add_f64 v[3:4], v[3:4], -v[21:22]
	s_delay_alu instid0(VALU_DEP_3) | instskip(NEXT) | instid1(VALU_DEP_3)
	v_add_f64 v[1:2], v[1:2], -v[11:12]
	v_fma_f64 v[17:18], -v[35:36], v[23:24], v[19:20]
	s_delay_alu instid0(VALU_DEP_3) | instskip(NEXT) | instid1(VALU_DEP_3)
	v_mul_f64 v[11:12], v[3:4], v[15:16]
	v_mul_f64 v[15:16], v[15:16], -v[1:2]
	s_delay_alu instid0(VALU_DEP_3) | instskip(NEXT) | instid1(VALU_DEP_3)
	v_div_fmas_f64 v[17:18], v[17:18], v[37:38], v[23:24]
	v_fma_f64 v[1:2], v[1:2], v[13:14], v[11:12]
	s_delay_alu instid0(VALU_DEP_3) | instskip(NEXT) | instid1(VALU_DEP_3)
	v_fma_f64 v[3:4], v[3:4], v[13:14], v[15:16]
	v_div_fixup_f64 v[11:12], v[17:18], v[33:34], 1.0
	s_delay_alu instid0(VALU_DEP_1) | instskip(NEXT) | instid1(VALU_DEP_3)
	v_mul_f64 v[1:2], v[1:2], v[11:12]
	v_mul_f64 v[3:4], v[11:12], v[3:4]
                                        ; implicit-def: $vgpr11
	ds_store_b128 v10, v[1:4] offset:24576
                                        ; implicit-def: $vgpr10
                                        ; implicit-def: $vgpr1_vgpr2
.LBB81_14:                              ;   in Loop: Header=BB81_9 Depth=1
	s_and_not1_saveexec_b32 s7, s7
	s_cbranch_execz .LBB81_7
; %bb.15:                               ;   in Loop: Header=BB81_9 Depth=1
	ds_load_b128 v[12:15], v10 offset:8192
	s_waitcnt lgkmcnt(0)
	v_mul_f64 v[16:17], v[14:15], v[14:15]
	s_delay_alu instid0(VALU_DEP_1) | instskip(NEXT) | instid1(VALU_DEP_1)
	v_fma_f64 v[24:25], v[12:13], v[12:13], v[16:17]
	v_div_scale_f64 v[26:27], null, v[24:25], v[24:25], 1.0
	v_div_scale_f64 v[34:35], vcc_lo, 1.0, v[24:25], 1.0
	s_delay_alu instid0(VALU_DEP_2) | instskip(SKIP_2) | instid1(VALU_DEP_1)
	v_rcp_f64_e32 v[16:17], v[26:27]
	s_waitcnt_depctr 0xfff
	v_fma_f64 v[18:19], -v[26:27], v[16:17], 1.0
	v_fma_f64 v[28:29], v[16:17], v[18:19], v[16:17]
	ds_load_b128 v[16:19], v11 offset:24576
	ds_load_b128 v[20:23], v10 offset:16384
	s_waitcnt lgkmcnt(0)
	v_mul_f64 v[32:33], v[18:19], v[20:21]
	v_mul_f64 v[18:19], v[18:19], -v[22:23]
	v_fma_f64 v[30:31], -v[26:27], v[28:29], 1.0
	s_delay_alu instid0(VALU_DEP_3) | instskip(NEXT) | instid1(VALU_DEP_3)
	v_fma_f64 v[22:23], v[22:23], v[16:17], v[32:33]
	v_fma_f64 v[16:17], v[20:21], v[16:17], v[18:19]
	s_delay_alu instid0(VALU_DEP_3) | instskip(NEXT) | instid1(VALU_DEP_3)
	v_fma_f64 v[28:29], v[28:29], v[30:31], v[28:29]
	v_add_f64 v[3:4], v[3:4], -v[22:23]
	s_delay_alu instid0(VALU_DEP_3) | instskip(NEXT) | instid1(VALU_DEP_3)
	v_add_f64 v[1:2], v[1:2], -v[16:17]
	v_mul_f64 v[30:31], v[34:35], v[28:29]
	s_delay_alu instid0(VALU_DEP_3) | instskip(NEXT) | instid1(VALU_DEP_3)
	v_mul_f64 v[16:17], v[3:4], v[14:15]
	v_mul_f64 v[14:15], v[14:15], -v[1:2]
	s_delay_alu instid0(VALU_DEP_3) | instskip(NEXT) | instid1(VALU_DEP_3)
	v_fma_f64 v[18:19], -v[26:27], v[30:31], v[34:35]
	v_fma_f64 v[1:2], v[1:2], v[12:13], v[16:17]
	s_delay_alu instid0(VALU_DEP_3) | instskip(NEXT) | instid1(VALU_DEP_3)
	v_fma_f64 v[3:4], v[3:4], v[12:13], v[14:15]
	v_div_fmas_f64 v[18:19], v[18:19], v[28:29], v[30:31]
	s_delay_alu instid0(VALU_DEP_1) | instskip(NEXT) | instid1(VALU_DEP_1)
	v_div_fixup_f64 v[16:17], v[18:19], v[24:25], 1.0
	v_mul_f64 v[1:2], v[1:2], v[16:17]
	s_delay_alu instid0(VALU_DEP_4)
	v_mul_f64 v[3:4], v[3:4], v[16:17]
	ds_store_b128 v10, v[1:4] offset:24576
	s_branch .LBB81_7
.LBB81_16:
	s_load_b32 s0, s[0:1], 0x8
	s_waitcnt lgkmcnt(0)
	s_barrier
	buffer_gl0_inv
	ds_load_2addr_b64 v[0:3], v8 offset1:1
	ds_load_2addr_b64 v[7:10], v7 offset1:1
	s_mul_i32 s15, s15, s0
	s_delay_alu instid0(SALU_CYCLE_1) | instskip(NEXT) | instid1(VALU_DEP_1)
	v_dual_mov_b32 v12, 0 :: v_dual_add_nc_u32 v11, s15, v5
	v_lshlrev_b64 v[4:5], 4, v[11:12]
	v_add_nc_u32_e32 v11, s15, v6
	s_delay_alu instid0(VALU_DEP_1) | instskip(NEXT) | instid1(VALU_DEP_3)
	v_lshlrev_b64 v[11:12], 4, v[11:12]
	v_add_co_u32 v4, vcc_lo, s4, v4
	s_delay_alu instid0(VALU_DEP_4) | instskip(NEXT) | instid1(VALU_DEP_3)
	v_add_co_ci_u32_e32 v5, vcc_lo, s5, v5, vcc_lo
	v_add_co_u32 v11, vcc_lo, s4, v11
	s_delay_alu instid0(VALU_DEP_4)
	v_add_co_ci_u32_e32 v12, vcc_lo, s5, v12, vcc_lo
	s_waitcnt lgkmcnt(1)
	global_store_b128 v[4:5], v[0:3], off
	s_waitcnt lgkmcnt(0)
	global_store_b128 v[11:12], v[7:10], off
	s_nop 0
	s_sendmsg sendmsg(MSG_DEALLOC_VGPRS)
	s_endpgm
	.section	.rodata,"a",@progbits
	.p2align	6, 0x0
	.amdhsa_kernel _ZN9rocsparseL48gtsv_nopivot_strided_batch_cr_pow2_stage2_kernelILj256E21rocsparse_complex_numIdEEEviiiPKT0_S5_S5_S5_PS3_
		.amdhsa_group_segment_fixed_size 40960
		.amdhsa_private_segment_fixed_size 0
		.amdhsa_kernarg_size 312
		.amdhsa_user_sgpr_count 14
		.amdhsa_user_sgpr_dispatch_ptr 0
		.amdhsa_user_sgpr_queue_ptr 0
		.amdhsa_user_sgpr_kernarg_segment_ptr 1
		.amdhsa_user_sgpr_dispatch_id 0
		.amdhsa_user_sgpr_private_segment_size 0
		.amdhsa_wavefront_size32 1
		.amdhsa_uses_dynamic_stack 0
		.amdhsa_enable_private_segment 0
		.amdhsa_system_sgpr_workgroup_id_x 1
		.amdhsa_system_sgpr_workgroup_id_y 1
		.amdhsa_system_sgpr_workgroup_id_z 0
		.amdhsa_system_sgpr_workgroup_info 0
		.amdhsa_system_vgpr_workitem_id 0
		.amdhsa_next_free_vgpr 64
		.amdhsa_next_free_sgpr 16
		.amdhsa_reserve_vcc 1
		.amdhsa_float_round_mode_32 0
		.amdhsa_float_round_mode_16_64 0
		.amdhsa_float_denorm_mode_32 3
		.amdhsa_float_denorm_mode_16_64 3
		.amdhsa_dx10_clamp 1
		.amdhsa_ieee_mode 1
		.amdhsa_fp16_overflow 0
		.amdhsa_workgroup_processor_mode 1
		.amdhsa_memory_ordered 1
		.amdhsa_forward_progress 0
		.amdhsa_shared_vgpr_count 0
		.amdhsa_exception_fp_ieee_invalid_op 0
		.amdhsa_exception_fp_denorm_src 0
		.amdhsa_exception_fp_ieee_div_zero 0
		.amdhsa_exception_fp_ieee_overflow 0
		.amdhsa_exception_fp_ieee_underflow 0
		.amdhsa_exception_fp_ieee_inexact 0
		.amdhsa_exception_int_div_zero 0
	.end_amdhsa_kernel
	.section	.text._ZN9rocsparseL48gtsv_nopivot_strided_batch_cr_pow2_stage2_kernelILj256E21rocsparse_complex_numIdEEEviiiPKT0_S5_S5_S5_PS3_,"axG",@progbits,_ZN9rocsparseL48gtsv_nopivot_strided_batch_cr_pow2_stage2_kernelILj256E21rocsparse_complex_numIdEEEviiiPKT0_S5_S5_S5_PS3_,comdat
.Lfunc_end81:
	.size	_ZN9rocsparseL48gtsv_nopivot_strided_batch_cr_pow2_stage2_kernelILj256E21rocsparse_complex_numIdEEEviiiPKT0_S5_S5_S5_PS3_, .Lfunc_end81-_ZN9rocsparseL48gtsv_nopivot_strided_batch_cr_pow2_stage2_kernelILj256E21rocsparse_complex_numIdEEEviiiPKT0_S5_S5_S5_PS3_
                                        ; -- End function
	.section	.AMDGPU.csdata,"",@progbits
; Kernel info:
; codeLenInByte = 2908
; NumSgprs: 18
; NumVgprs: 64
; ScratchSize: 0
; MemoryBound: 0
; FloatMode: 240
; IeeeMode: 1
; LDSByteSize: 40960 bytes/workgroup (compile time only)
; SGPRBlocks: 2
; VGPRBlocks: 7
; NumSGPRsForWavesPerEU: 18
; NumVGPRsForWavesPerEU: 64
; Occupancy: 6
; WaveLimiterHint : 0
; COMPUTE_PGM_RSRC2:SCRATCH_EN: 0
; COMPUTE_PGM_RSRC2:USER_SGPR: 14
; COMPUTE_PGM_RSRC2:TRAP_HANDLER: 0
; COMPUTE_PGM_RSRC2:TGID_X_EN: 1
; COMPUTE_PGM_RSRC2:TGID_Y_EN: 1
; COMPUTE_PGM_RSRC2:TGID_Z_EN: 0
; COMPUTE_PGM_RSRC2:TIDIG_COMP_CNT: 0
	.section	.text._ZN9rocsparseL44gtsv_nopivot_strided_batch_pcr_stage1_kernelILj256E21rocsparse_complex_numIdEEEviiiiPKT0_S5_S5_S5_PS3_S6_S6_S6_,"axG",@progbits,_ZN9rocsparseL44gtsv_nopivot_strided_batch_pcr_stage1_kernelILj256E21rocsparse_complex_numIdEEEviiiiPKT0_S5_S5_S5_PS3_S6_S6_S6_,comdat
	.globl	_ZN9rocsparseL44gtsv_nopivot_strided_batch_pcr_stage1_kernelILj256E21rocsparse_complex_numIdEEEviiiiPKT0_S5_S5_S5_PS3_S6_S6_S6_ ; -- Begin function _ZN9rocsparseL44gtsv_nopivot_strided_batch_pcr_stage1_kernelILj256E21rocsparse_complex_numIdEEEviiiiPKT0_S5_S5_S5_PS3_S6_S6_S6_
	.p2align	8
	.type	_ZN9rocsparseL44gtsv_nopivot_strided_batch_pcr_stage1_kernelILj256E21rocsparse_complex_numIdEEEviiiiPKT0_S5_S5_S5_PS3_S6_S6_S6_,@function
_ZN9rocsparseL44gtsv_nopivot_strided_batch_pcr_stage1_kernelILj256E21rocsparse_complex_numIdEEEviiiiPKT0_S5_S5_S5_PS3_S6_S6_S6_: ; @_ZN9rocsparseL44gtsv_nopivot_strided_batch_pcr_stage1_kernelILj256E21rocsparse_complex_numIdEEEviiiiPKT0_S5_S5_S5_PS3_S6_S6_S6_
; %bb.0:
	s_load_b64 s[8:9], s[0:1], 0x0
	v_lshl_or_b32 v0, s14, 8, v0
	s_mov_b32 s2, exec_lo
	s_waitcnt lgkmcnt(0)
	s_delay_alu instid0(VALU_DEP_1)
	v_cmpx_gt_i32_e64 s9, v0
	s_cbranch_execz .LBB82_2
; %bb.1:
	s_clause 0x2
	s_load_b32 s10, s[0:1], 0xc
	s_load_b256 s[16:23], s[0:1], 0x10
	s_load_b256 s[0:7], s[0:1], 0x30
	v_subrev_nc_u32_e32 v1, s8, v0
	v_mov_b32_e32 v2, 0
	s_mul_i32 s24, s15, s9
	v_add_nc_u32_e32 v6, s8, v0
	s_delay_alu instid0(VALU_DEP_3) | instskip(NEXT) | instid1(VALU_DEP_1)
	v_max_i32_e32 v1, 0, v1
	v_lshlrev_b64 v[34:35], 4, v[1:2]
	s_waitcnt lgkmcnt(0)
	s_mul_i32 s10, s15, s10
	s_delay_alu instid0(SALU_CYCLE_1) | instskip(NEXT) | instid1(SALU_CYCLE_1)
	s_ashr_i32 s11, s10, 31
	s_lshl_b64 s[26:27], s[10:11], 4
	s_delay_alu instid0(SALU_CYCLE_1) | instskip(SKIP_2) | instid1(SALU_CYCLE_1)
	s_add_u32 s13, s16, s26
	s_addc_u32 s14, s17, s27
	s_ashr_i32 s25, s24, 31
	s_lshl_b64 s[24:25], s[24:25], 4
	s_delay_alu instid0(SALU_CYCLE_1)
	s_add_u32 s10, s0, s24
	s_addc_u32 s1, s1, s25
	s_add_u32 s0, s18, s26
	s_addc_u32 s12, s19, s27
	v_add_co_u32 v1, vcc_lo, s0, v34
	v_add_co_ci_u32_e32 v2, vcc_lo, s12, v35, vcc_lo
	s_add_u32 s8, s2, s24
	s_addc_u32 s11, s3, s25
	s_add_u32 s17, s20, s26
	global_load_b128 v[2:5], v[1:2], off
	s_addc_u32 s18, s21, s27
	s_add_u32 s2, s4, s24
	s_addc_u32 s3, s5, s25
	s_add_u32 s15, s22, s26
	v_cmp_gt_i32_e32 vcc_lo, s9, v6
	s_addc_u32 s16, s23, s27
	s_add_u32 s4, s6, s24
	s_addc_u32 s5, s7, s25
	s_add_i32 s6, s9, -1
	s_delay_alu instid0(SALU_CYCLE_1) | instskip(NEXT) | instid1(VALU_DEP_1)
	v_cndmask_b32_e32 v6, s6, v6, vcc_lo
	v_ashrrev_i32_e32 v7, 31, v6
	s_delay_alu instid0(VALU_DEP_1) | instskip(NEXT) | instid1(VALU_DEP_1)
	v_lshlrev_b64 v[38:39], 4, v[6:7]
	v_add_co_u32 v6, vcc_lo, s0, v38
	s_delay_alu instid0(VALU_DEP_2) | instskip(SKIP_2) | instid1(VALU_DEP_1)
	v_add_co_ci_u32_e32 v7, vcc_lo, s12, v39, vcc_lo
	global_load_b128 v[6:9], v[6:7], off
	v_ashrrev_i32_e32 v1, 31, v0
	v_lshlrev_b64 v[52:53], 4, v[0:1]
	s_delay_alu instid0(VALU_DEP_1) | instskip(NEXT) | instid1(VALU_DEP_2)
	v_add_co_u32 v0, vcc_lo, s13, v52
	v_add_co_ci_u32_e32 v1, vcc_lo, s14, v53, vcc_lo
	s_waitcnt vmcnt(1)
	v_mul_f64 v[10:11], v[4:5], v[4:5]
	s_waitcnt vmcnt(0)
	v_mul_f64 v[14:15], v[8:9], v[8:9]
	s_delay_alu instid0(VALU_DEP_2)
	v_fma_f64 v[50:51], v[2:3], v[2:3], v[10:11]
	global_load_b128 v[10:13], v[0:1], off
	v_fma_f64 v[0:1], v[6:7], v[6:7], v[14:15]
	v_add_co_u32 v14, vcc_lo, s17, v52
	v_add_co_ci_u32_e32 v15, vcc_lo, s18, v53, vcc_lo
	v_div_scale_f64 v[54:55], null, v[50:51], v[50:51], 1.0
	v_add_co_u32 v18, vcc_lo, s17, v34
	global_load_b128 v[14:17], v[14:15], off
	v_add_co_ci_u32_e32 v19, vcc_lo, s18, v35, vcc_lo
	v_add_co_u32 v22, vcc_lo, s15, v34
	v_add_co_ci_u32_e32 v23, vcc_lo, s16, v35, vcc_lo
	global_load_b128 v[18:21], v[18:19], off
	global_load_b128 v[22:25], v[22:23], off
	v_div_scale_f64 v[56:57], null, v[0:1], v[0:1], 1.0
	v_rcp_f64_e32 v[26:27], v[54:55]
	s_delay_alu instid0(VALU_DEP_1) | instskip(SKIP_3) | instid1(VALU_DEP_2)
	v_rcp_f64_e32 v[36:37], v[56:57]
	s_waitcnt_depctr 0xfff
	v_fma_f64 v[28:29], -v[54:55], v[26:27], 1.0
	v_fma_f64 v[40:41], -v[56:57], v[36:37], 1.0
	v_fma_f64 v[58:59], v[26:27], v[28:29], v[26:27]
	v_add_co_u32 v26, vcc_lo, s13, v38
	v_add_co_ci_u32_e32 v27, vcc_lo, s14, v39, vcc_lo
	v_add_co_u32 v30, vcc_lo, s15, v38
	v_add_co_ci_u32_e32 v31, vcc_lo, s16, v39, vcc_lo
	global_load_b128 v[26:29], v[26:27], off
	global_load_b128 v[30:33], v[30:31], off
	v_add_co_u32 v34, vcc_lo, s13, v34
	v_add_co_ci_u32_e32 v35, vcc_lo, s14, v35, vcc_lo
	v_add_co_u32 v38, vcc_lo, s17, v38
	v_add_co_ci_u32_e32 v39, vcc_lo, s18, v39, vcc_lo
	;; [unrolled: 2-line block ×4, first 2 shown]
	v_div_scale_f64 v[66:67], vcc_lo, 1.0, v[50:51], 1.0
	v_fma_f64 v[60:61], v[36:37], v[40:41], v[36:37]
	global_load_b128 v[34:37], v[34:35], off
	global_load_b128 v[38:41], v[38:39], off
	;; [unrolled: 1-line block ×4, first 2 shown]
	v_fma_f64 v[62:63], -v[54:55], v[58:59], 1.0
	v_fma_f64 v[64:65], -v[56:57], v[60:61], 1.0
	s_delay_alu instid0(VALU_DEP_2) | instskip(SKIP_1) | instid1(VALU_DEP_3)
	v_fma_f64 v[58:59], v[58:59], v[62:63], v[58:59]
	v_div_scale_f64 v[62:63], s0, 1.0, v[0:1], 1.0
	v_fma_f64 v[60:61], v[60:61], v[64:65], v[60:61]
	s_delay_alu instid0(VALU_DEP_3) | instskip(NEXT) | instid1(VALU_DEP_2)
	v_mul_f64 v[64:65], v[66:67], v[58:59]
	v_mul_f64 v[68:69], v[62:63], v[60:61]
	s_delay_alu instid0(VALU_DEP_2) | instskip(NEXT) | instid1(VALU_DEP_2)
	v_fma_f64 v[54:55], -v[54:55], v[64:65], v[66:67]
	v_fma_f64 v[56:57], -v[56:57], v[68:69], v[62:63]
	s_waitcnt vmcnt(9)
	v_mul_f64 v[62:63], v[4:5], -v[10:11]
	v_mul_f64 v[4:5], v[4:5], v[12:13]
	s_delay_alu instid0(VALU_DEP_4)
	v_div_fmas_f64 v[54:55], v[54:55], v[58:59], v[64:65]
	s_mov_b32 vcc_lo, s0
	s_waitcnt vmcnt(8)
	v_mul_f64 v[58:59], v[8:9], -v[14:15]
	v_mul_f64 v[8:9], v[8:9], v[16:17]
	v_div_fmas_f64 v[56:57], v[56:57], v[60:61], v[68:69]
	v_fma_f64 v[12:13], v[12:13], v[2:3], v[62:63]
	v_fma_f64 v[2:3], v[10:11], v[2:3], v[4:5]
	v_div_fixup_f64 v[50:51], v[54:55], v[50:51], 1.0
	v_fma_f64 v[16:17], v[16:17], v[6:7], v[58:59]
	v_fma_f64 v[6:7], v[14:15], v[6:7], v[8:9]
	v_div_fixup_f64 v[0:1], v[56:57], v[0:1], 1.0
	s_delay_alu instid0(VALU_DEP_4) | instskip(SKIP_1) | instid1(VALU_DEP_3)
	v_mul_f64 v[4:5], v[50:51], v[12:13]
	v_mul_f64 v[2:3], v[50:51], v[2:3]
	v_mul_f64 v[8:9], v[0:1], v[16:17]
	v_mul_f64 v[6:7], v[0:1], v[6:7]
	s_waitcnt vmcnt(7)
	s_delay_alu instid0(VALU_DEP_4)
	v_mul_f64 v[10:11], v[4:5], -v[20:21]
	v_mul_f64 v[12:13], v[4:5], v[18:19]
	s_waitcnt vmcnt(6)
	v_mul_f64 v[14:15], v[4:5], -v[24:25]
	v_mul_f64 v[16:17], v[4:5], v[22:23]
	s_waitcnt vmcnt(5)
	;; [unrolled: 3-line block ×3, first 2 shown]
	v_mul_f64 v[54:55], v[8:9], -v[32:33]
	v_mul_f64 v[56:57], v[30:31], v[8:9]
	v_fma_f64 v[10:11], v[18:19], v[2:3], v[10:11]
	v_fma_f64 v[12:13], v[20:21], v[2:3], v[12:13]
	;; [unrolled: 1-line block ×4, first 2 shown]
	s_waitcnt vmcnt(3)
	v_mul_f64 v[18:19], v[4:5], v[36:37]
	v_mul_f64 v[4:5], v[4:5], -v[34:35]
	s_waitcnt vmcnt(2)
	v_mul_f64 v[20:21], v[8:9], v[40:41]
	v_fma_f64 v[22:23], v[26:27], v[6:7], v[0:1]
	v_fma_f64 v[24:25], v[28:29], v[6:7], v[50:51]
	;; [unrolled: 1-line block ×4, first 2 shown]
	v_mul_f64 v[30:31], v[8:9], -v[38:39]
	s_waitcnt vmcnt(1)
	v_add_f64 v[10:11], v[42:43], -v[10:11]
	v_add_f64 v[12:13], v[44:45], -v[12:13]
	s_waitcnt vmcnt(0)
	v_add_f64 v[14:15], v[46:47], -v[14:15]
	v_add_f64 v[16:17], v[48:49], -v[16:17]
	v_fma_f64 v[0:1], -v[34:35], v[2:3], v[18:19]
	v_fma_f64 v[2:3], -v[36:37], v[2:3], v[4:5]
	;; [unrolled: 1-line block ×4, first 2 shown]
	v_add_f64 v[8:9], v[10:11], -v[22:23]
	v_add_f64 v[10:11], v[12:13], -v[24:25]
	;; [unrolled: 1-line block ×4, first 2 shown]
	v_add_co_u32 v16, vcc_lo, s10, v52
	v_add_co_ci_u32_e32 v17, vcc_lo, s1, v53, vcc_lo
	v_add_co_u32 v18, vcc_lo, s8, v52
	v_add_co_ci_u32_e32 v19, vcc_lo, s11, v53, vcc_lo
	;; [unrolled: 2-line block ×4, first 2 shown]
	global_store_b128 v[16:17], v[0:3], off
	global_store_b128 v[18:19], v[8:11], off
	;; [unrolled: 1-line block ×4, first 2 shown]
.LBB82_2:
	s_nop 0
	s_sendmsg sendmsg(MSG_DEALLOC_VGPRS)
	s_endpgm
	.section	.rodata,"a",@progbits
	.p2align	6, 0x0
	.amdhsa_kernel _ZN9rocsparseL44gtsv_nopivot_strided_batch_pcr_stage1_kernelILj256E21rocsparse_complex_numIdEEEviiiiPKT0_S5_S5_S5_PS3_S6_S6_S6_
		.amdhsa_group_segment_fixed_size 0
		.amdhsa_private_segment_fixed_size 0
		.amdhsa_kernarg_size 80
		.amdhsa_user_sgpr_count 14
		.amdhsa_user_sgpr_dispatch_ptr 0
		.amdhsa_user_sgpr_queue_ptr 0
		.amdhsa_user_sgpr_kernarg_segment_ptr 1
		.amdhsa_user_sgpr_dispatch_id 0
		.amdhsa_user_sgpr_private_segment_size 0
		.amdhsa_wavefront_size32 1
		.amdhsa_uses_dynamic_stack 0
		.amdhsa_enable_private_segment 0
		.amdhsa_system_sgpr_workgroup_id_x 1
		.amdhsa_system_sgpr_workgroup_id_y 1
		.amdhsa_system_sgpr_workgroup_id_z 0
		.amdhsa_system_sgpr_workgroup_info 0
		.amdhsa_system_vgpr_workitem_id 0
		.amdhsa_next_free_vgpr 70
		.amdhsa_next_free_sgpr 28
		.amdhsa_reserve_vcc 1
		.amdhsa_float_round_mode_32 0
		.amdhsa_float_round_mode_16_64 0
		.amdhsa_float_denorm_mode_32 3
		.amdhsa_float_denorm_mode_16_64 3
		.amdhsa_dx10_clamp 1
		.amdhsa_ieee_mode 1
		.amdhsa_fp16_overflow 0
		.amdhsa_workgroup_processor_mode 1
		.amdhsa_memory_ordered 1
		.amdhsa_forward_progress 0
		.amdhsa_shared_vgpr_count 0
		.amdhsa_exception_fp_ieee_invalid_op 0
		.amdhsa_exception_fp_denorm_src 0
		.amdhsa_exception_fp_ieee_div_zero 0
		.amdhsa_exception_fp_ieee_overflow 0
		.amdhsa_exception_fp_ieee_underflow 0
		.amdhsa_exception_fp_ieee_inexact 0
		.amdhsa_exception_int_div_zero 0
	.end_amdhsa_kernel
	.section	.text._ZN9rocsparseL44gtsv_nopivot_strided_batch_pcr_stage1_kernelILj256E21rocsparse_complex_numIdEEEviiiiPKT0_S5_S5_S5_PS3_S6_S6_S6_,"axG",@progbits,_ZN9rocsparseL44gtsv_nopivot_strided_batch_pcr_stage1_kernelILj256E21rocsparse_complex_numIdEEEviiiiPKT0_S5_S5_S5_PS3_S6_S6_S6_,comdat
.Lfunc_end82:
	.size	_ZN9rocsparseL44gtsv_nopivot_strided_batch_pcr_stage1_kernelILj256E21rocsparse_complex_numIdEEEviiiiPKT0_S5_S5_S5_PS3_S6_S6_S6_, .Lfunc_end82-_ZN9rocsparseL44gtsv_nopivot_strided_batch_pcr_stage1_kernelILj256E21rocsparse_complex_numIdEEEviiiiPKT0_S5_S5_S5_PS3_S6_S6_S6_
                                        ; -- End function
	.section	.AMDGPU.csdata,"",@progbits
; Kernel info:
; codeLenInByte = 1224
; NumSgprs: 30
; NumVgprs: 70
; ScratchSize: 0
; MemoryBound: 0
; FloatMode: 240
; IeeeMode: 1
; LDSByteSize: 0 bytes/workgroup (compile time only)
; SGPRBlocks: 3
; VGPRBlocks: 8
; NumSGPRsForWavesPerEU: 30
; NumVGPRsForWavesPerEU: 70
; Occupancy: 16
; WaveLimiterHint : 0
; COMPUTE_PGM_RSRC2:SCRATCH_EN: 0
; COMPUTE_PGM_RSRC2:USER_SGPR: 14
; COMPUTE_PGM_RSRC2:TRAP_HANDLER: 0
; COMPUTE_PGM_RSRC2:TGID_X_EN: 1
; COMPUTE_PGM_RSRC2:TGID_Y_EN: 1
; COMPUTE_PGM_RSRC2:TGID_Z_EN: 0
; COMPUTE_PGM_RSRC2:TIDIG_COMP_CNT: 0
	.section	.text._ZN9rocsparseL44gtsv_nopivot_strided_batch_pcr_stage2_kernelILj512E21rocsparse_complex_numIdEEEviiiPKT0_S5_S5_S5_PS3_,"axG",@progbits,_ZN9rocsparseL44gtsv_nopivot_strided_batch_pcr_stage2_kernelILj512E21rocsparse_complex_numIdEEEviiiPKT0_S5_S5_S5_PS3_,comdat
	.globl	_ZN9rocsparseL44gtsv_nopivot_strided_batch_pcr_stage2_kernelILj512E21rocsparse_complex_numIdEEEviiiPKT0_S5_S5_S5_PS3_ ; -- Begin function _ZN9rocsparseL44gtsv_nopivot_strided_batch_pcr_stage2_kernelILj512E21rocsparse_complex_numIdEEEviiiPKT0_S5_S5_S5_PS3_
	.p2align	8
	.type	_ZN9rocsparseL44gtsv_nopivot_strided_batch_pcr_stage2_kernelILj512E21rocsparse_complex_numIdEEEviiiPKT0_S5_S5_S5_PS3_,@function
_ZN9rocsparseL44gtsv_nopivot_strided_batch_pcr_stage2_kernelILj512E21rocsparse_complex_numIdEEEviiiPKT0_S5_S5_S5_PS3_: ; @_ZN9rocsparseL44gtsv_nopivot_strided_batch_pcr_stage2_kernelILj512E21rocsparse_complex_numIdEEEviiiPKT0_S5_S5_S5_PS3_
; %bb.0:
	s_clause 0x2
	s_load_b32 s2, s[0:1], 0x38
	s_load_b32 s3, s[0:1], 0x0
	s_load_b256 s[4:11], s[0:1], 0x10
	v_mov_b32_e32 v3, 0
	s_waitcnt lgkmcnt(0)
	v_mad_u64_u32 v[1:2], null, s2, v0, s[14:15]
	s_mul_i32 s12, s15, s3
	s_add_i32 s13, s14, s3
	s_delay_alu instid0(SALU_CYCLE_1) | instskip(NEXT) | instid1(VALU_DEP_1)
	s_add_i32 s13, s13, s12
	v_add_nc_u32_e32 v2, s12, v1
	s_sub_i32 s12, s13, s2
	v_cmp_gt_i32_e64 s2, s3, v1
	s_delay_alu instid0(VALU_DEP_1) | instskip(NEXT) | instid1(VALU_DEP_1)
	v_cndmask_b32_e64 v2, s12, v2, s2
	v_lshlrev_b64 v[2:3], 4, v[2:3]
	s_delay_alu instid0(VALU_DEP_1) | instskip(NEXT) | instid1(VALU_DEP_2)
	v_add_co_u32 v4, vcc_lo, s4, v2
	v_add_co_ci_u32_e32 v5, vcc_lo, s5, v3, vcc_lo
	v_add_co_u32 v10, vcc_lo, s6, v2
	v_add_co_ci_u32_e32 v11, vcc_lo, s7, v3, vcc_lo
	;; [unrolled: 2-line block ×4, first 2 shown]
	global_load_b128 v[6:9], v[4:5], off
	global_load_b128 v[10:13], v[10:11], off
	;; [unrolled: 1-line block ×4, first 2 shown]
	s_load_b64 s[4:5], s[0:1], 0x30
	v_lshlrev_b32_e32 v2, 4, v0
	s_mov_b32 s6, 1
	s_mov_b32 s7, 8
	s_delay_alu instid0(VALU_DEP_1)
	v_or_b32_e32 v5, 0x2000, v2
	v_or_b32_e32 v4, 0x4000, v2
	v_or_b32_e32 v3, 0x8000, v2
	s_waitcnt vmcnt(3)
	ds_store_2addr_b64 v2, v[6:7], v[8:9] offset1:1
	s_waitcnt vmcnt(2)
	ds_store_2addr_b64 v5, v[10:11], v[12:13] offset1:1
	;; [unrolled: 2-line block ×4, first 2 shown]
	s_waitcnt lgkmcnt(0)
	s_barrier
	buffer_gl0_inv
.LBB83_1:                               ; =>This Inner Loop Header: Depth=1
	v_subrev_nc_u32_e32 v6, s6, v0
	v_add_nc_u32_e32 v14, s6, v0
	s_add_i32 s7, s7, -1
	s_lshl_b32 s6, s6, 1
	s_cmp_eq_u32 s7, 0
	v_max_i32_e32 v6, 0, v6
	v_min_u32_e32 v14, 0x1ff, v14
	s_delay_alu instid0(VALU_DEP_2) | instskip(NEXT) | instid1(VALU_DEP_2)
	v_lshlrev_b32_e32 v54, 4, v6
	v_lshlrev_b32_e32 v56, 4, v14
	ds_load_b128 v[6:9], v54 offset:8192
	ds_load_b128 v[10:13], v54 offset:16384
	;; [unrolled: 1-line block ×4, first 2 shown]
	s_waitcnt lgkmcnt(3)
	v_mul_f64 v[22:23], v[8:9], v[8:9]
	s_waitcnt lgkmcnt(1)
	v_mul_f64 v[24:25], v[16:17], v[16:17]
	s_delay_alu instid0(VALU_DEP_2) | instskip(NEXT) | instid1(VALU_DEP_2)
	v_fma_f64 v[38:39], v[6:7], v[6:7], v[22:23]
	v_fma_f64 v[40:41], v[14:15], v[14:15], v[24:25]
	s_delay_alu instid0(VALU_DEP_2) | instskip(NEXT) | instid1(VALU_DEP_2)
	v_div_scale_f64 v[22:23], null, v[38:39], v[38:39], 1.0
	v_div_scale_f64 v[30:31], null, v[40:41], v[40:41], 1.0
	v_div_scale_f64 v[42:43], s3, 1.0, v[40:41], 1.0
	s_delay_alu instid0(VALU_DEP_3) | instskip(NEXT) | instid1(VALU_DEP_2)
	v_rcp_f64_e32 v[24:25], v[22:23]
	v_rcp_f64_e32 v[26:27], v[30:31]
	s_waitcnt_depctr 0xfff
	v_fma_f64 v[28:29], -v[22:23], v[24:25], 1.0
	v_fma_f64 v[32:33], -v[30:31], v[26:27], 1.0
	s_delay_alu instid0(VALU_DEP_2) | instskip(NEXT) | instid1(VALU_DEP_2)
	v_fma_f64 v[24:25], v[24:25], v[28:29], v[24:25]
	v_fma_f64 v[26:27], v[26:27], v[32:33], v[26:27]
	v_div_scale_f64 v[32:33], vcc_lo, 1.0, v[38:39], 1.0
	s_delay_alu instid0(VALU_DEP_3) | instskip(NEXT) | instid1(VALU_DEP_3)
	v_fma_f64 v[28:29], -v[22:23], v[24:25], 1.0
	v_fma_f64 v[34:35], -v[30:31], v[26:27], 1.0
	s_delay_alu instid0(VALU_DEP_2) | instskip(NEXT) | instid1(VALU_DEP_2)
	v_fma_f64 v[36:37], v[24:25], v[28:29], v[24:25]
	v_fma_f64 v[44:45], v[26:27], v[34:35], v[26:27]
	s_delay_alu instid0(VALU_DEP_2) | instskip(NEXT) | instid1(VALU_DEP_2)
	v_mul_f64 v[34:35], v[32:33], v[36:37]
	v_mul_f64 v[46:47], v[42:43], v[44:45]
	s_delay_alu instid0(VALU_DEP_2)
	v_fma_f64 v[32:33], -v[22:23], v[34:35], v[32:33]
	ds_load_b128 v[22:25], v2
	ds_load_b128 v[26:29], v5
	v_fma_f64 v[42:43], -v[30:31], v[46:47], v[42:43]
	s_waitcnt lgkmcnt(1)
	v_mul_f64 v[48:49], v[8:9], -v[22:23]
	v_mul_f64 v[8:9], v[8:9], v[24:25]
	v_div_fmas_f64 v[50:51], v[32:33], v[36:37], v[34:35]
	ds_load_b128 v[30:33], v4
	ds_load_b128 v[34:37], v3
	s_mov_b32 vcc_lo, s3
	v_div_fmas_f64 v[42:43], v[42:43], v[44:45], v[46:47]
	s_waitcnt lgkmcnt(1)
	v_mul_f64 v[52:53], v[16:17], -v[30:31]
	v_fma_f64 v[24:25], v[24:25], v[6:7], v[48:49]
	v_mul_f64 v[16:17], v[16:17], v[32:33]
	v_fma_f64 v[44:45], v[22:23], v[6:7], v[8:9]
	v_div_fixup_f64 v[38:39], v[50:51], v[38:39], 1.0
	v_div_fixup_f64 v[40:41], v[42:43], v[40:41], 1.0
	v_fma_f64 v[32:33], v[32:33], v[14:15], v[52:53]
	v_fma_f64 v[46:47], v[30:31], v[14:15], v[16:17]
	s_delay_alu instid0(VALU_DEP_4)
	v_mul_f64 v[42:43], v[38:39], v[24:25]
	ds_load_b128 v[6:9], v54 offset:32768
	ds_load_b128 v[22:25], v54
	v_mul_f64 v[38:39], v[38:39], v[44:45]
	v_mul_f64 v[44:45], v[40:41], v[32:33]
	ds_load_b128 v[14:17], v56
	ds_load_b128 v[30:33], v56 offset:32768
	v_mul_f64 v[40:41], v[40:41], v[46:47]
	s_waitcnt lgkmcnt(0)
	s_barrier
	buffer_gl0_inv
	v_mul_f64 v[48:49], v[42:43], -v[12:13]
	v_mul_f64 v[50:51], v[42:43], v[10:11]
	v_mul_f64 v[52:53], v[42:43], -v[8:9]
	v_mul_f64 v[54:55], v[42:43], v[6:7]
	;; [unrolled: 2-line block ×4, first 2 shown]
	v_fma_f64 v[10:11], v[10:11], v[38:39], v[48:49]
	v_fma_f64 v[12:13], v[12:13], v[38:39], v[50:51]
	;; [unrolled: 1-line block ×4, first 2 shown]
	v_mul_f64 v[48:49], v[42:43], v[24:25]
	v_mul_f64 v[42:43], v[42:43], -v[22:23]
	v_mul_f64 v[50:51], v[44:45], v[20:21]
	v_mul_f64 v[44:45], v[44:45], -v[18:19]
	v_fma_f64 v[14:15], v[14:15], v[40:41], v[46:47]
	v_fma_f64 v[16:17], v[16:17], v[40:41], v[56:57]
	;; [unrolled: 1-line block ×4, first 2 shown]
	v_add_f64 v[26:27], v[26:27], -v[10:11]
	v_add_f64 v[28:29], v[28:29], -v[12:13]
	;; [unrolled: 1-line block ×4, first 2 shown]
	v_fma_f64 v[6:7], -v[22:23], v[38:39], v[48:49]
	v_fma_f64 v[8:9], -v[24:25], v[38:39], v[42:43]
	;; [unrolled: 1-line block ×4, first 2 shown]
	v_add_f64 v[14:15], v[26:27], -v[14:15]
	v_add_f64 v[16:17], v[28:29], -v[16:17]
	;; [unrolled: 1-line block ×4, first 2 shown]
	ds_store_b128 v5, v[14:17]
	ds_store_b128 v2, v[6:9]
	ds_store_b128 v3, v[18:21]
	ds_store_b128 v4, v[10:13]
	s_waitcnt lgkmcnt(0)
	s_barrier
	buffer_gl0_inv
	s_cbranch_scc0 .LBB83_1
; %bb.2:
	s_mov_b32 s3, exec_lo
	v_cmpx_gt_u32_e32 0x100, v0
	s_cbranch_execz .LBB83_4
; %bb.3:
	ds_load_b128 v[6:9], v5
	ds_load_b128 v[10:13], v2 offset:4096
	ds_load_b128 v[14:17], v5 offset:4096
	ds_load_b128 v[18:21], v4
	s_waitcnt lgkmcnt(1)
	v_mul_f64 v[4:5], v[8:9], v[14:15]
	s_waitcnt lgkmcnt(0)
	v_mul_f64 v[22:23], v[12:13], v[18:19]
	v_mul_f64 v[24:25], v[8:9], -v[16:17]
	v_mul_f64 v[26:27], v[12:13], -v[20:21]
	s_delay_alu instid0(VALU_DEP_4) | instskip(NEXT) | instid1(VALU_DEP_4)
	v_fma_f64 v[4:5], v[16:17], v[6:7], v[4:5]
	v_fma_f64 v[22:23], v[20:21], v[10:11], v[22:23]
	s_delay_alu instid0(VALU_DEP_4) | instskip(NEXT) | instid1(VALU_DEP_4)
	v_fma_f64 v[24:25], v[14:15], v[6:7], v[24:25]
	v_fma_f64 v[26:27], v[18:19], v[10:11], v[26:27]
	s_delay_alu instid0(VALU_DEP_3) | instskip(NEXT) | instid1(VALU_DEP_2)
	v_add_f64 v[4:5], v[4:5], -v[22:23]
	v_add_f64 v[30:31], v[24:25], -v[26:27]
	s_delay_alu instid0(VALU_DEP_2) | instskip(NEXT) | instid1(VALU_DEP_1)
	v_mul_f64 v[22:23], v[4:5], v[4:5]
	v_fma_f64 v[32:33], v[30:31], v[30:31], v[22:23]
	s_delay_alu instid0(VALU_DEP_1) | instskip(SKIP_1) | instid1(VALU_DEP_2)
	v_div_scale_f64 v[22:23], null, v[32:33], v[32:33], 1.0
	v_div_scale_f64 v[28:29], vcc_lo, 1.0, v[32:33], 1.0
	v_rcp_f64_e32 v[24:25], v[22:23]
	s_waitcnt_depctr 0xfff
	v_fma_f64 v[26:27], -v[22:23], v[24:25], 1.0
	s_delay_alu instid0(VALU_DEP_1) | instskip(NEXT) | instid1(VALU_DEP_1)
	v_fma_f64 v[24:25], v[24:25], v[26:27], v[24:25]
	v_fma_f64 v[26:27], -v[22:23], v[24:25], 1.0
	s_delay_alu instid0(VALU_DEP_1) | instskip(NEXT) | instid1(VALU_DEP_1)
	v_fma_f64 v[34:35], v[24:25], v[26:27], v[24:25]
	v_mul_f64 v[36:37], v[28:29], v[34:35]
	s_delay_alu instid0(VALU_DEP_1)
	v_fma_f64 v[38:39], -v[22:23], v[36:37], v[28:29]
	ds_load_b128 v[22:25], v3
	ds_load_b128 v[26:29], v3 offset:4096
	s_waitcnt lgkmcnt(1)
	v_mul_f64 v[40:41], v[24:25], -v[16:17]
	v_mul_f64 v[42:43], v[14:15], v[24:25]
	s_waitcnt lgkmcnt(0)
	v_mul_f64 v[44:45], v[28:29], -v[20:21]
	v_mul_f64 v[46:47], v[18:19], v[28:29]
	v_mul_f64 v[48:49], v[8:9], -v[28:29]
	v_mul_f64 v[8:9], v[8:9], v[26:27]
	v_div_fmas_f64 v[34:35], v[38:39], v[34:35], v[36:37]
	v_mul_f64 v[36:37], v[12:13], v[22:23]
	v_mul_f64 v[12:13], v[12:13], -v[24:25]
	v_fma_f64 v[38:39], v[30:31], 0, -v[4:5]
	v_fma_f64 v[3:4], v[4:5], 0, v[30:31]
	v_fma_f64 v[14:15], v[14:15], v[22:23], v[40:41]
	;; [unrolled: 1-line block ×7, first 2 shown]
	v_div_fixup_f64 v[32:33], v[34:35], v[32:33], 1.0
	v_fma_f64 v[8:9], v[24:25], v[10:11], v[36:37]
	v_fma_f64 v[10:11], v[22:23], v[10:11], v[12:13]
	v_add_f64 v[14:15], v[14:15], -v[18:19]
	v_add_f64 v[12:13], v[16:17], -v[20:21]
	v_mul_f64 v[16:17], v[38:39], v[32:33]
	v_add_f64 v[18:19], v[6:7], -v[8:9]
	v_add_f64 v[7:8], v[26:27], -v[10:11]
	v_mul_f64 v[9:10], v[3:4], v[32:33]
	s_delay_alu instid0(VALU_DEP_4) | instskip(SKIP_3) | instid1(VALU_DEP_4)
	v_mul_f64 v[3:4], v[16:17], -v[12:13]
	v_mul_f64 v[5:6], v[16:17], v[14:15]
	v_mul_f64 v[20:21], v[16:17], -v[18:19]
	v_mul_f64 v[16:17], v[16:17], v[7:8]
	v_fma_f64 v[3:4], v[14:15], v[9:10], v[3:4]
	s_delay_alu instid0(VALU_DEP_4) | instskip(NEXT) | instid1(VALU_DEP_4)
	v_fma_f64 v[5:6], v[12:13], v[9:10], v[5:6]
	v_fma_f64 v[7:8], v[7:8], v[9:10], v[20:21]
	s_delay_alu instid0(VALU_DEP_4)
	v_fma_f64 v[9:10], v[18:19], v[9:10], v[16:17]
	ds_store_b128 v2, v[3:6] offset:24576
	ds_store_b128 v2, v[7:10] offset:28672
.LBB83_4:
	s_or_b32 exec_lo, exec_lo, s3
	s_waitcnt lgkmcnt(0)
	s_barrier
	buffer_gl0_inv
	s_and_saveexec_b32 s3, s2
	s_cbranch_execz .LBB83_6
; %bb.5:
	s_load_b32 s0, s[0:1], 0x8
	v_lshl_or_b32 v0, v0, 4, 0x6000
	s_waitcnt lgkmcnt(0)
	v_mad_u64_u32 v[4:5], null, s15, s0, v[1:2]
	ds_load_2addr_b64 v[0:3], v0 offset1:1
	v_mov_b32_e32 v5, 0
	s_delay_alu instid0(VALU_DEP_1) | instskip(NEXT) | instid1(VALU_DEP_1)
	v_lshlrev_b64 v[4:5], 4, v[4:5]
	v_add_co_u32 v4, vcc_lo, s4, v4
	s_delay_alu instid0(VALU_DEP_2)
	v_add_co_ci_u32_e32 v5, vcc_lo, s5, v5, vcc_lo
	s_waitcnt lgkmcnt(0)
	global_store_b128 v[4:5], v[0:3], off
.LBB83_6:
	s_nop 0
	s_sendmsg sendmsg(MSG_DEALLOC_VGPRS)
	s_endpgm
	.section	.rodata,"a",@progbits
	.p2align	6, 0x0
	.amdhsa_kernel _ZN9rocsparseL44gtsv_nopivot_strided_batch_pcr_stage2_kernelILj512E21rocsparse_complex_numIdEEEviiiPKT0_S5_S5_S5_PS3_
		.amdhsa_group_segment_fixed_size 40960
		.amdhsa_private_segment_fixed_size 0
		.amdhsa_kernarg_size 312
		.amdhsa_user_sgpr_count 14
		.amdhsa_user_sgpr_dispatch_ptr 0
		.amdhsa_user_sgpr_queue_ptr 0
		.amdhsa_user_sgpr_kernarg_segment_ptr 1
		.amdhsa_user_sgpr_dispatch_id 0
		.amdhsa_user_sgpr_private_segment_size 0
		.amdhsa_wavefront_size32 1
		.amdhsa_uses_dynamic_stack 0
		.amdhsa_enable_private_segment 0
		.amdhsa_system_sgpr_workgroup_id_x 1
		.amdhsa_system_sgpr_workgroup_id_y 1
		.amdhsa_system_sgpr_workgroup_id_z 0
		.amdhsa_system_sgpr_workgroup_info 0
		.amdhsa_system_vgpr_workitem_id 0
		.amdhsa_next_free_vgpr 62
		.amdhsa_next_free_sgpr 16
		.amdhsa_reserve_vcc 1
		.amdhsa_float_round_mode_32 0
		.amdhsa_float_round_mode_16_64 0
		.amdhsa_float_denorm_mode_32 3
		.amdhsa_float_denorm_mode_16_64 3
		.amdhsa_dx10_clamp 1
		.amdhsa_ieee_mode 1
		.amdhsa_fp16_overflow 0
		.amdhsa_workgroup_processor_mode 1
		.amdhsa_memory_ordered 1
		.amdhsa_forward_progress 0
		.amdhsa_shared_vgpr_count 0
		.amdhsa_exception_fp_ieee_invalid_op 0
		.amdhsa_exception_fp_denorm_src 0
		.amdhsa_exception_fp_ieee_div_zero 0
		.amdhsa_exception_fp_ieee_overflow 0
		.amdhsa_exception_fp_ieee_underflow 0
		.amdhsa_exception_fp_ieee_inexact 0
		.amdhsa_exception_int_div_zero 0
	.end_amdhsa_kernel
	.section	.text._ZN9rocsparseL44gtsv_nopivot_strided_batch_pcr_stage2_kernelILj512E21rocsparse_complex_numIdEEEviiiPKT0_S5_S5_S5_PS3_,"axG",@progbits,_ZN9rocsparseL44gtsv_nopivot_strided_batch_pcr_stage2_kernelILj512E21rocsparse_complex_numIdEEEviiiPKT0_S5_S5_S5_PS3_,comdat
.Lfunc_end83:
	.size	_ZN9rocsparseL44gtsv_nopivot_strided_batch_pcr_stage2_kernelILj512E21rocsparse_complex_numIdEEEviiiPKT0_S5_S5_S5_PS3_, .Lfunc_end83-_ZN9rocsparseL44gtsv_nopivot_strided_batch_pcr_stage2_kernelILj512E21rocsparse_complex_numIdEEEviiiPKT0_S5_S5_S5_PS3_
                                        ; -- End function
	.section	.AMDGPU.csdata,"",@progbits
; Kernel info:
; codeLenInByte = 1816
; NumSgprs: 18
; NumVgprs: 62
; ScratchSize: 0
; MemoryBound: 0
; FloatMode: 240
; IeeeMode: 1
; LDSByteSize: 40960 bytes/workgroup (compile time only)
; SGPRBlocks: 2
; VGPRBlocks: 7
; NumSGPRsForWavesPerEU: 18
; NumVGPRsForWavesPerEU: 62
; Occupancy: 12
; WaveLimiterHint : 0
; COMPUTE_PGM_RSRC2:SCRATCH_EN: 0
; COMPUTE_PGM_RSRC2:USER_SGPR: 14
; COMPUTE_PGM_RSRC2:TRAP_HANDLER: 0
; COMPUTE_PGM_RSRC2:TGID_X_EN: 1
; COMPUTE_PGM_RSRC2:TGID_Y_EN: 1
; COMPUTE_PGM_RSRC2:TGID_Z_EN: 0
; COMPUTE_PGM_RSRC2:TIDIG_COMP_CNT: 0
	.text
	.p2alignl 7, 3214868480
	.fill 96, 4, 3214868480
	.type	__hip_cuid_a6047cf29c50ec45,@object ; @__hip_cuid_a6047cf29c50ec45
	.section	.bss,"aw",@nobits
	.globl	__hip_cuid_a6047cf29c50ec45
__hip_cuid_a6047cf29c50ec45:
	.byte	0                               ; 0x0
	.size	__hip_cuid_a6047cf29c50ec45, 1

	.ident	"AMD clang version 19.0.0git (https://github.com/RadeonOpenCompute/llvm-project roc-6.4.0 25133 c7fe45cf4b819c5991fe208aaa96edf142730f1d)"
	.section	".note.GNU-stack","",@progbits
	.addrsig
	.addrsig_sym __hip_cuid_a6047cf29c50ec45
	.amdgpu_metadata
---
amdhsa.kernels:
  - .args:
      - .offset:         0
        .size:           4
        .value_kind:     by_value
      - .offset:         4
        .size:           4
        .value_kind:     by_value
      - .offset:         8
        .size:           4
        .value_kind:     by_value
      - .actual_access:  read_only
        .address_space:  global
        .offset:         16
        .size:           8
        .value_kind:     global_buffer
      - .actual_access:  read_only
        .address_space:  global
        .offset:         24
        .size:           8
        .value_kind:     global_buffer
      - .actual_access:  read_only
        .address_space:  global
        .offset:         32
        .size:           8
        .value_kind:     global_buffer
      - .address_space:  global
        .offset:         40
        .size:           8
        .value_kind:     global_buffer
    .group_segment_fixed_size: 76
    .kernarg_segment_align: 8
    .kernarg_segment_size: 48
    .language:       OpenCL C
    .language_version:
      - 2
      - 0
    .max_flat_workgroup_size: 2
    .name:           _ZN9rocsparseL49gtsv_nopivot_strided_batch_pcr_pow2_shared_kernelILj2EfEEviiiPKT0_S3_S3_PS1_
    .private_segment_fixed_size: 0
    .sgpr_count:     18
    .sgpr_spill_count: 0
    .symbol:         _ZN9rocsparseL49gtsv_nopivot_strided_batch_pcr_pow2_shared_kernelILj2EfEEviiiPKT0_S3_S3_PS1_.kd
    .uniform_work_group_size: 1
    .uses_dynamic_stack: false
    .vgpr_count:     16
    .vgpr_spill_count: 0
    .wavefront_size: 32
    .workgroup_processor_mode: 1
  - .args:
      - .offset:         0
        .size:           4
        .value_kind:     by_value
      - .offset:         4
        .size:           4
        .value_kind:     by_value
      - .offset:         8
        .size:           4
        .value_kind:     by_value
      - .actual_access:  read_only
        .address_space:  global
        .offset:         16
        .size:           8
        .value_kind:     global_buffer
      - .actual_access:  read_only
        .address_space:  global
        .offset:         24
        .size:           8
        .value_kind:     global_buffer
      - .actual_access:  read_only
        .address_space:  global
        .offset:         32
        .size:           8
        .value_kind:     global_buffer
      - .address_space:  global
        .offset:         40
        .size:           8
        .value_kind:     global_buffer
    .group_segment_fixed_size: 148
    .kernarg_segment_align: 8
    .kernarg_segment_size: 48
    .language:       OpenCL C
    .language_version:
      - 2
      - 0
    .max_flat_workgroup_size: 4
    .name:           _ZN9rocsparseL49gtsv_nopivot_strided_batch_pcr_pow2_shared_kernelILj4EfEEviiiPKT0_S3_S3_PS1_
    .private_segment_fixed_size: 0
    .sgpr_count:     18
    .sgpr_spill_count: 0
    .symbol:         _ZN9rocsparseL49gtsv_nopivot_strided_batch_pcr_pow2_shared_kernelILj4EfEEviiiPKT0_S3_S3_PS1_.kd
    .uniform_work_group_size: 1
    .uses_dynamic_stack: false
    .vgpr_count:     25
    .vgpr_spill_count: 0
    .wavefront_size: 32
    .workgroup_processor_mode: 1
  - .args:
      - .offset:         0
        .size:           4
        .value_kind:     by_value
      - .offset:         4
        .size:           4
        .value_kind:     by_value
      - .offset:         8
        .size:           4
        .value_kind:     by_value
      - .actual_access:  read_only
        .address_space:  global
        .offset:         16
        .size:           8
        .value_kind:     global_buffer
      - .actual_access:  read_only
        .address_space:  global
        .offset:         24
        .size:           8
        .value_kind:     global_buffer
      - .actual_access:  read_only
        .address_space:  global
        .offset:         32
        .size:           8
        .value_kind:     global_buffer
      - .address_space:  global
        .offset:         40
        .size:           8
        .value_kind:     global_buffer
    .group_segment_fixed_size: 228
    .kernarg_segment_align: 8
    .kernarg_segment_size: 48
    .language:       OpenCL C
    .language_version:
      - 2
      - 0
    .max_flat_workgroup_size: 8
    .name:           _ZN9rocsparseL49gtsv_nopivot_strided_batch_pcr_pow2_shared_kernelILj8EfEEviiiPKT0_S3_S3_PS1_
    .private_segment_fixed_size: 0
    .sgpr_count:     18
    .sgpr_spill_count: 0
    .symbol:         _ZN9rocsparseL49gtsv_nopivot_strided_batch_pcr_pow2_shared_kernelILj8EfEEviiiPKT0_S3_S3_PS1_.kd
    .uniform_work_group_size: 1
    .uses_dynamic_stack: false
    .vgpr_count:     25
    .vgpr_spill_count: 0
    .wavefront_size: 32
    .workgroup_processor_mode: 1
  - .args:
      - .offset:         0
        .size:           4
        .value_kind:     by_value
      - .offset:         4
        .size:           4
        .value_kind:     by_value
      - .offset:         8
        .size:           4
        .value_kind:     by_value
      - .actual_access:  read_only
        .address_space:  global
        .offset:         16
        .size:           8
        .value_kind:     global_buffer
      - .actual_access:  read_only
        .address_space:  global
        .offset:         24
        .size:           8
        .value_kind:     global_buffer
      - .actual_access:  read_only
        .address_space:  global
        .offset:         32
        .size:           8
        .value_kind:     global_buffer
      - .address_space:  global
        .offset:         40
        .size:           8
        .value_kind:     global_buffer
    .group_segment_fixed_size: 388
    .kernarg_segment_align: 8
    .kernarg_segment_size: 48
    .language:       OpenCL C
    .language_version:
      - 2
      - 0
    .max_flat_workgroup_size: 16
    .name:           _ZN9rocsparseL49gtsv_nopivot_strided_batch_pcr_pow2_shared_kernelILj16EfEEviiiPKT0_S3_S3_PS1_
    .private_segment_fixed_size: 0
    .sgpr_count:     18
    .sgpr_spill_count: 0
    .symbol:         _ZN9rocsparseL49gtsv_nopivot_strided_batch_pcr_pow2_shared_kernelILj16EfEEviiiPKT0_S3_S3_PS1_.kd
    .uniform_work_group_size: 1
    .uses_dynamic_stack: false
    .vgpr_count:     25
    .vgpr_spill_count: 0
    .wavefront_size: 32
    .workgroup_processor_mode: 1
  - .args:
      - .offset:         0
        .size:           4
        .value_kind:     by_value
      - .offset:         4
        .size:           4
        .value_kind:     by_value
      - .offset:         8
        .size:           4
        .value_kind:     by_value
      - .actual_access:  read_only
        .address_space:  global
        .offset:         16
        .size:           8
        .value_kind:     global_buffer
      - .actual_access:  read_only
        .address_space:  global
        .offset:         24
        .size:           8
        .value_kind:     global_buffer
      - .actual_access:  read_only
        .address_space:  global
        .offset:         32
        .size:           8
        .value_kind:     global_buffer
      - .address_space:  global
        .offset:         40
        .size:           8
        .value_kind:     global_buffer
    .group_segment_fixed_size: 708
    .kernarg_segment_align: 8
    .kernarg_segment_size: 48
    .language:       OpenCL C
    .language_version:
      - 2
      - 0
    .max_flat_workgroup_size: 32
    .name:           _ZN9rocsparseL49gtsv_nopivot_strided_batch_pcr_pow2_shared_kernelILj32EfEEviiiPKT0_S3_S3_PS1_
    .private_segment_fixed_size: 0
    .sgpr_count:     18
    .sgpr_spill_count: 0
    .symbol:         _ZN9rocsparseL49gtsv_nopivot_strided_batch_pcr_pow2_shared_kernelILj32EfEEviiiPKT0_S3_S3_PS1_.kd
    .uniform_work_group_size: 1
    .uses_dynamic_stack: false
    .vgpr_count:     25
    .vgpr_spill_count: 0
    .wavefront_size: 32
    .workgroup_processor_mode: 1
  - .args:
      - .offset:         0
        .size:           4
        .value_kind:     by_value
      - .offset:         4
        .size:           4
        .value_kind:     by_value
      - .offset:         8
        .size:           4
        .value_kind:     by_value
      - .actual_access:  read_only
        .address_space:  global
        .offset:         16
        .size:           8
        .value_kind:     global_buffer
      - .actual_access:  read_only
        .address_space:  global
        .offset:         24
        .size:           8
        .value_kind:     global_buffer
      - .actual_access:  read_only
        .address_space:  global
        .offset:         32
        .size:           8
        .value_kind:     global_buffer
      - .address_space:  global
        .offset:         40
        .size:           8
        .value_kind:     global_buffer
    .group_segment_fixed_size: 1348
    .kernarg_segment_align: 8
    .kernarg_segment_size: 48
    .language:       OpenCL C
    .language_version:
      - 2
      - 0
    .max_flat_workgroup_size: 64
    .name:           _ZN9rocsparseL49gtsv_nopivot_strided_batch_pcr_pow2_shared_kernelILj64EfEEviiiPKT0_S3_S3_PS1_
    .private_segment_fixed_size: 0
    .sgpr_count:     18
    .sgpr_spill_count: 0
    .symbol:         _ZN9rocsparseL49gtsv_nopivot_strided_batch_pcr_pow2_shared_kernelILj64EfEEviiiPKT0_S3_S3_PS1_.kd
    .uniform_work_group_size: 1
    .uses_dynamic_stack: false
    .vgpr_count:     26
    .vgpr_spill_count: 0
    .wavefront_size: 32
    .workgroup_processor_mode: 1
  - .args:
      - .offset:         0
        .size:           4
        .value_kind:     by_value
      - .offset:         4
        .size:           4
        .value_kind:     by_value
      - .offset:         8
        .size:           4
        .value_kind:     by_value
      - .actual_access:  read_only
        .address_space:  global
        .offset:         16
        .size:           8
        .value_kind:     global_buffer
      - .actual_access:  read_only
        .address_space:  global
        .offset:         24
        .size:           8
        .value_kind:     global_buffer
      - .actual_access:  read_only
        .address_space:  global
        .offset:         32
        .size:           8
        .value_kind:     global_buffer
      - .address_space:  global
        .offset:         40
        .size:           8
        .value_kind:     global_buffer
    .group_segment_fixed_size: 3840
    .kernarg_segment_align: 8
    .kernarg_segment_size: 48
    .language:       OpenCL C
    .language_version:
      - 2
      - 0
    .max_flat_workgroup_size: 64
    .name:           _ZN9rocsparseL51gtsv_nopivot_strided_batch_crpcr_pow2_shared_kernelILj64ELj64EfEEviiiPKT1_S3_S3_PS1_
    .private_segment_fixed_size: 0
    .sgpr_count:     18
    .sgpr_spill_count: 0
    .symbol:         _ZN9rocsparseL51gtsv_nopivot_strided_batch_crpcr_pow2_shared_kernelILj64ELj64EfEEviiiPKT1_S3_S3_PS1_.kd
    .uniform_work_group_size: 1
    .uses_dynamic_stack: false
    .vgpr_count:     33
    .vgpr_spill_count: 0
    .wavefront_size: 32
    .workgroup_processor_mode: 1
  - .args:
      - .offset:         0
        .size:           4
        .value_kind:     by_value
      - .offset:         4
        .size:           4
        .value_kind:     by_value
      - .offset:         8
        .size:           4
        .value_kind:     by_value
      - .actual_access:  read_only
        .address_space:  global
        .offset:         16
        .size:           8
        .value_kind:     global_buffer
      - .actual_access:  read_only
        .address_space:  global
        .offset:         24
        .size:           8
        .value_kind:     global_buffer
      - .actual_access:  read_only
        .address_space:  global
        .offset:         32
        .size:           8
        .value_kind:     global_buffer
      - .address_space:  global
        .offset:         40
        .size:           8
        .value_kind:     global_buffer
    .group_segment_fixed_size: 6400
    .kernarg_segment_align: 8
    .kernarg_segment_size: 48
    .language:       OpenCL C
    .language_version:
      - 2
      - 0
    .max_flat_workgroup_size: 128
    .name:           _ZN9rocsparseL51gtsv_nopivot_strided_batch_crpcr_pow2_shared_kernelILj128ELj64EfEEviiiPKT1_S3_S3_PS1_
    .private_segment_fixed_size: 0
    .sgpr_count:     18
    .sgpr_spill_count: 0
    .symbol:         _ZN9rocsparseL51gtsv_nopivot_strided_batch_crpcr_pow2_shared_kernelILj128ELj64EfEEviiiPKT1_S3_S3_PS1_.kd
    .uniform_work_group_size: 1
    .uses_dynamic_stack: false
    .vgpr_count:     32
    .vgpr_spill_count: 0
    .wavefront_size: 32
    .workgroup_processor_mode: 1
  - .args:
      - .offset:         0
        .size:           4
        .value_kind:     by_value
      - .offset:         4
        .size:           4
        .value_kind:     by_value
      - .offset:         8
        .size:           4
        .value_kind:     by_value
      - .actual_access:  read_only
        .address_space:  global
        .offset:         16
        .size:           8
        .value_kind:     global_buffer
      - .actual_access:  read_only
        .address_space:  global
        .offset:         24
        .size:           8
        .value_kind:     global_buffer
      - .actual_access:  read_only
        .address_space:  global
        .offset:         32
        .size:           8
        .value_kind:     global_buffer
      - .address_space:  global
        .offset:         40
        .size:           8
        .value_kind:     global_buffer
    .group_segment_fixed_size: 11520
    .kernarg_segment_align: 8
    .kernarg_segment_size: 48
    .language:       OpenCL C
    .language_version:
      - 2
      - 0
    .max_flat_workgroup_size: 256
    .name:           _ZN9rocsparseL51gtsv_nopivot_strided_batch_crpcr_pow2_shared_kernelILj256ELj64EfEEviiiPKT1_S3_S3_PS1_
    .private_segment_fixed_size: 0
    .sgpr_count:     18
    .sgpr_spill_count: 0
    .symbol:         _ZN9rocsparseL51gtsv_nopivot_strided_batch_crpcr_pow2_shared_kernelILj256ELj64EfEEviiiPKT1_S3_S3_PS1_.kd
    .uniform_work_group_size: 1
    .uses_dynamic_stack: false
    .vgpr_count:     32
    .vgpr_spill_count: 0
    .wavefront_size: 32
    .workgroup_processor_mode: 1
  - .args:
      - .offset:         0
        .size:           4
        .value_kind:     by_value
      - .offset:         4
        .size:           4
        .value_kind:     by_value
      - .offset:         8
        .size:           4
        .value_kind:     by_value
      - .actual_access:  read_only
        .address_space:  global
        .offset:         16
        .size:           8
        .value_kind:     global_buffer
      - .actual_access:  read_only
        .address_space:  global
        .offset:         24
        .size:           8
        .value_kind:     global_buffer
      - .actual_access:  read_only
        .address_space:  global
        .offset:         32
        .size:           8
        .value_kind:     global_buffer
      - .address_space:  global
        .offset:         40
        .size:           8
        .value_kind:     global_buffer
    .group_segment_fixed_size: 80
    .kernarg_segment_align: 8
    .kernarg_segment_size: 48
    .language:       OpenCL C
    .language_version:
      - 2
      - 0
    .max_flat_workgroup_size: 4
    .name:           _ZN9rocsparseL44gtsv_nopivot_strided_batch_pcr_shared_kernelILj4EfEEviiiPKT0_S3_S3_PS1_
    .private_segment_fixed_size: 0
    .sgpr_count:     18
    .sgpr_spill_count: 0
    .symbol:         _ZN9rocsparseL44gtsv_nopivot_strided_batch_pcr_shared_kernelILj4EfEEviiiPKT0_S3_S3_PS1_.kd
    .uniform_work_group_size: 1
    .uses_dynamic_stack: false
    .vgpr_count:     28
    .vgpr_spill_count: 0
    .wavefront_size: 32
    .workgroup_processor_mode: 1
  - .args:
      - .offset:         0
        .size:           4
        .value_kind:     by_value
      - .offset:         4
        .size:           4
        .value_kind:     by_value
      - .offset:         8
        .size:           4
        .value_kind:     by_value
      - .actual_access:  read_only
        .address_space:  global
        .offset:         16
        .size:           8
        .value_kind:     global_buffer
      - .actual_access:  read_only
        .address_space:  global
        .offset:         24
        .size:           8
        .value_kind:     global_buffer
      - .actual_access:  read_only
        .address_space:  global
        .offset:         32
        .size:           8
        .value_kind:     global_buffer
      - .address_space:  global
        .offset:         40
        .size:           8
        .value_kind:     global_buffer
    .group_segment_fixed_size: 160
    .kernarg_segment_align: 8
    .kernarg_segment_size: 48
    .language:       OpenCL C
    .language_version:
      - 2
      - 0
    .max_flat_workgroup_size: 8
    .name:           _ZN9rocsparseL44gtsv_nopivot_strided_batch_pcr_shared_kernelILj8EfEEviiiPKT0_S3_S3_PS1_
    .private_segment_fixed_size: 0
    .sgpr_count:     18
    .sgpr_spill_count: 0
    .symbol:         _ZN9rocsparseL44gtsv_nopivot_strided_batch_pcr_shared_kernelILj8EfEEviiiPKT0_S3_S3_PS1_.kd
    .uniform_work_group_size: 1
    .uses_dynamic_stack: false
    .vgpr_count:     27
    .vgpr_spill_count: 0
    .wavefront_size: 32
    .workgroup_processor_mode: 1
  - .args:
      - .offset:         0
        .size:           4
        .value_kind:     by_value
      - .offset:         4
        .size:           4
        .value_kind:     by_value
      - .offset:         8
        .size:           4
        .value_kind:     by_value
      - .actual_access:  read_only
        .address_space:  global
        .offset:         16
        .size:           8
        .value_kind:     global_buffer
      - .actual_access:  read_only
        .address_space:  global
        .offset:         24
        .size:           8
        .value_kind:     global_buffer
      - .actual_access:  read_only
        .address_space:  global
        .offset:         32
        .size:           8
        .value_kind:     global_buffer
      - .address_space:  global
        .offset:         40
        .size:           8
        .value_kind:     global_buffer
    .group_segment_fixed_size: 320
    .kernarg_segment_align: 8
    .kernarg_segment_size: 48
    .language:       OpenCL C
    .language_version:
      - 2
      - 0
    .max_flat_workgroup_size: 16
    .name:           _ZN9rocsparseL44gtsv_nopivot_strided_batch_pcr_shared_kernelILj16EfEEviiiPKT0_S3_S3_PS1_
    .private_segment_fixed_size: 0
    .sgpr_count:     18
    .sgpr_spill_count: 0
    .symbol:         _ZN9rocsparseL44gtsv_nopivot_strided_batch_pcr_shared_kernelILj16EfEEviiiPKT0_S3_S3_PS1_.kd
    .uniform_work_group_size: 1
    .uses_dynamic_stack: false
    .vgpr_count:     27
    .vgpr_spill_count: 0
    .wavefront_size: 32
    .workgroup_processor_mode: 1
  - .args:
      - .offset:         0
        .size:           4
        .value_kind:     by_value
      - .offset:         4
        .size:           4
        .value_kind:     by_value
      - .offset:         8
        .size:           4
        .value_kind:     by_value
      - .actual_access:  read_only
        .address_space:  global
        .offset:         16
        .size:           8
        .value_kind:     global_buffer
      - .actual_access:  read_only
        .address_space:  global
        .offset:         24
        .size:           8
        .value_kind:     global_buffer
      - .actual_access:  read_only
        .address_space:  global
        .offset:         32
        .size:           8
        .value_kind:     global_buffer
      - .address_space:  global
        .offset:         40
        .size:           8
        .value_kind:     global_buffer
    .group_segment_fixed_size: 640
    .kernarg_segment_align: 8
    .kernarg_segment_size: 48
    .language:       OpenCL C
    .language_version:
      - 2
      - 0
    .max_flat_workgroup_size: 32
    .name:           _ZN9rocsparseL44gtsv_nopivot_strided_batch_pcr_shared_kernelILj32EfEEviiiPKT0_S3_S3_PS1_
    .private_segment_fixed_size: 0
    .sgpr_count:     18
    .sgpr_spill_count: 0
    .symbol:         _ZN9rocsparseL44gtsv_nopivot_strided_batch_pcr_shared_kernelILj32EfEEviiiPKT0_S3_S3_PS1_.kd
    .uniform_work_group_size: 1
    .uses_dynamic_stack: false
    .vgpr_count:     27
    .vgpr_spill_count: 0
    .wavefront_size: 32
    .workgroup_processor_mode: 1
  - .args:
      - .offset:         0
        .size:           4
        .value_kind:     by_value
      - .offset:         4
        .size:           4
        .value_kind:     by_value
      - .offset:         8
        .size:           4
        .value_kind:     by_value
      - .actual_access:  read_only
        .address_space:  global
        .offset:         16
        .size:           8
        .value_kind:     global_buffer
      - .actual_access:  read_only
        .address_space:  global
        .offset:         24
        .size:           8
        .value_kind:     global_buffer
      - .actual_access:  read_only
        .address_space:  global
        .offset:         32
        .size:           8
        .value_kind:     global_buffer
      - .address_space:  global
        .offset:         40
        .size:           8
        .value_kind:     global_buffer
    .group_segment_fixed_size: 1280
    .kernarg_segment_align: 8
    .kernarg_segment_size: 48
    .language:       OpenCL C
    .language_version:
      - 2
      - 0
    .max_flat_workgroup_size: 64
    .name:           _ZN9rocsparseL44gtsv_nopivot_strided_batch_pcr_shared_kernelILj64EfEEviiiPKT0_S3_S3_PS1_
    .private_segment_fixed_size: 0
    .sgpr_count:     18
    .sgpr_spill_count: 0
    .symbol:         _ZN9rocsparseL44gtsv_nopivot_strided_batch_pcr_shared_kernelILj64EfEEviiiPKT0_S3_S3_PS1_.kd
    .uniform_work_group_size: 1
    .uses_dynamic_stack: false
    .vgpr_count:     27
    .vgpr_spill_count: 0
    .wavefront_size: 32
    .workgroup_processor_mode: 1
  - .args:
      - .offset:         0
        .size:           4
        .value_kind:     by_value
      - .offset:         4
        .size:           4
        .value_kind:     by_value
      - .offset:         8
        .size:           4
        .value_kind:     by_value
      - .actual_access:  read_only
        .address_space:  global
        .offset:         16
        .size:           8
        .value_kind:     global_buffer
      - .actual_access:  read_only
        .address_space:  global
        .offset:         24
        .size:           8
        .value_kind:     global_buffer
      - .actual_access:  read_only
        .address_space:  global
        .offset:         32
        .size:           8
        .value_kind:     global_buffer
      - .address_space:  global
        .offset:         40
        .size:           8
        .value_kind:     global_buffer
    .group_segment_fixed_size: 2560
    .kernarg_segment_align: 8
    .kernarg_segment_size: 48
    .language:       OpenCL C
    .language_version:
      - 2
      - 0
    .max_flat_workgroup_size: 128
    .name:           _ZN9rocsparseL44gtsv_nopivot_strided_batch_pcr_shared_kernelILj128EfEEviiiPKT0_S3_S3_PS1_
    .private_segment_fixed_size: 0
    .sgpr_count:     18
    .sgpr_spill_count: 0
    .symbol:         _ZN9rocsparseL44gtsv_nopivot_strided_batch_pcr_shared_kernelILj128EfEEviiiPKT0_S3_S3_PS1_.kd
    .uniform_work_group_size: 1
    .uses_dynamic_stack: false
    .vgpr_count:     27
    .vgpr_spill_count: 0
    .wavefront_size: 32
    .workgroup_processor_mode: 1
  - .args:
      - .offset:         0
        .size:           4
        .value_kind:     by_value
      - .offset:         4
        .size:           4
        .value_kind:     by_value
      - .offset:         8
        .size:           4
        .value_kind:     by_value
      - .actual_access:  read_only
        .address_space:  global
        .offset:         16
        .size:           8
        .value_kind:     global_buffer
      - .actual_access:  read_only
        .address_space:  global
        .offset:         24
        .size:           8
        .value_kind:     global_buffer
      - .actual_access:  read_only
        .address_space:  global
        .offset:         32
        .size:           8
        .value_kind:     global_buffer
      - .address_space:  global
        .offset:         40
        .size:           8
        .value_kind:     global_buffer
    .group_segment_fixed_size: 5120
    .kernarg_segment_align: 8
    .kernarg_segment_size: 48
    .language:       OpenCL C
    .language_version:
      - 2
      - 0
    .max_flat_workgroup_size: 256
    .name:           _ZN9rocsparseL44gtsv_nopivot_strided_batch_pcr_shared_kernelILj256EfEEviiiPKT0_S3_S3_PS1_
    .private_segment_fixed_size: 0
    .sgpr_count:     18
    .sgpr_spill_count: 0
    .symbol:         _ZN9rocsparseL44gtsv_nopivot_strided_batch_pcr_shared_kernelILj256EfEEviiiPKT0_S3_S3_PS1_.kd
    .uniform_work_group_size: 1
    .uses_dynamic_stack: false
    .vgpr_count:     28
    .vgpr_spill_count: 0
    .wavefront_size: 32
    .workgroup_processor_mode: 1
  - .args:
      - .offset:         0
        .size:           4
        .value_kind:     by_value
      - .offset:         4
        .size:           4
        .value_kind:     by_value
      - .offset:         8
        .size:           4
        .value_kind:     by_value
      - .actual_access:  read_only
        .address_space:  global
        .offset:         16
        .size:           8
        .value_kind:     global_buffer
      - .actual_access:  read_only
        .address_space:  global
        .offset:         24
        .size:           8
        .value_kind:     global_buffer
      - .actual_access:  read_only
        .address_space:  global
        .offset:         32
        .size:           8
        .value_kind:     global_buffer
      - .address_space:  global
        .offset:         40
        .size:           8
        .value_kind:     global_buffer
    .group_segment_fixed_size: 10240
    .kernarg_segment_align: 8
    .kernarg_segment_size: 48
    .language:       OpenCL C
    .language_version:
      - 2
      - 0
    .max_flat_workgroup_size: 512
    .name:           _ZN9rocsparseL44gtsv_nopivot_strided_batch_pcr_shared_kernelILj512EfEEviiiPKT0_S3_S3_PS1_
    .private_segment_fixed_size: 0
    .sgpr_count:     18
    .sgpr_spill_count: 0
    .symbol:         _ZN9rocsparseL44gtsv_nopivot_strided_batch_pcr_shared_kernelILj512EfEEviiiPKT0_S3_S3_PS1_.kd
    .uniform_work_group_size: 1
    .uses_dynamic_stack: false
    .vgpr_count:     28
    .vgpr_spill_count: 0
    .wavefront_size: 32
    .workgroup_processor_mode: 1
  - .args:
      - .offset:         0
        .size:           4
        .value_kind:     by_value
      - .offset:         4
        .size:           4
        .value_kind:     by_value
      - .offset:         8
        .size:           4
        .value_kind:     by_value
      - .offset:         12
        .size:           4
        .value_kind:     by_value
      - .actual_access:  read_only
        .address_space:  global
        .offset:         16
        .size:           8
        .value_kind:     global_buffer
      - .actual_access:  read_only
        .address_space:  global
        .offset:         24
        .size:           8
        .value_kind:     global_buffer
      - .actual_access:  read_only
        .address_space:  global
        .offset:         32
        .size:           8
        .value_kind:     global_buffer
      - .actual_access:  read_only
        .address_space:  global
        .offset:         40
        .size:           8
        .value_kind:     global_buffer
      - .actual_access:  write_only
        .address_space:  global
        .offset:         48
        .size:           8
        .value_kind:     global_buffer
      - .actual_access:  write_only
        .address_space:  global
        .offset:         56
        .size:           8
        .value_kind:     global_buffer
      - .actual_access:  write_only
        .address_space:  global
        .offset:         64
        .size:           8
        .value_kind:     global_buffer
      - .actual_access:  write_only
        .address_space:  global
        .offset:         72
        .size:           8
        .value_kind:     global_buffer
    .group_segment_fixed_size: 0
    .kernarg_segment_align: 8
    .kernarg_segment_size: 80
    .language:       OpenCL C
    .language_version:
      - 2
      - 0
    .max_flat_workgroup_size: 256
    .name:           _ZN9rocsparseL49gtsv_nopivot_strided_batch_pcr_pow2_stage1_kernelILj256EfEEviiiiPKT0_S3_S3_S3_PS1_S4_S4_S4_
    .private_segment_fixed_size: 0
    .sgpr_count:     26
    .sgpr_spill_count: 0
    .symbol:         _ZN9rocsparseL49gtsv_nopivot_strided_batch_pcr_pow2_stage1_kernelILj256EfEEviiiiPKT0_S3_S3_S3_PS1_S4_S4_S4_.kd
    .uniform_work_group_size: 1
    .uses_dynamic_stack: false
    .vgpr_count:     24
    .vgpr_spill_count: 0
    .wavefront_size: 32
    .workgroup_processor_mode: 1
  - .args:
      - .offset:         0
        .size:           4
        .value_kind:     by_value
      - .offset:         4
        .size:           4
        .value_kind:     by_value
      - .offset:         8
        .size:           4
        .value_kind:     by_value
      - .actual_access:  read_only
        .address_space:  global
        .offset:         16
        .size:           8
        .value_kind:     global_buffer
      - .actual_access:  read_only
        .address_space:  global
        .offset:         24
        .size:           8
        .value_kind:     global_buffer
      - .actual_access:  read_only
        .address_space:  global
        .offset:         32
        .size:           8
        .value_kind:     global_buffer
      - .actual_access:  read_only
        .address_space:  global
        .offset:         40
        .size:           8
        .value_kind:     global_buffer
      - .actual_access:  write_only
        .address_space:  global
        .offset:         48
        .size:           8
        .value_kind:     global_buffer
      - .offset:         56
        .size:           4
        .value_kind:     hidden_block_count_x
      - .offset:         60
        .size:           4
        .value_kind:     hidden_block_count_y
      - .offset:         64
        .size:           4
        .value_kind:     hidden_block_count_z
      - .offset:         68
        .size:           2
        .value_kind:     hidden_group_size_x
      - .offset:         70
        .size:           2
        .value_kind:     hidden_group_size_y
      - .offset:         72
        .size:           2
        .value_kind:     hidden_group_size_z
      - .offset:         74
        .size:           2
        .value_kind:     hidden_remainder_x
      - .offset:         76
        .size:           2
        .value_kind:     hidden_remainder_y
      - .offset:         78
        .size:           2
        .value_kind:     hidden_remainder_z
      - .offset:         96
        .size:           8
        .value_kind:     hidden_global_offset_x
      - .offset:         104
        .size:           8
        .value_kind:     hidden_global_offset_y
      - .offset:         112
        .size:           8
        .value_kind:     hidden_global_offset_z
      - .offset:         120
        .size:           2
        .value_kind:     hidden_grid_dims
    .group_segment_fixed_size: 10240
    .kernarg_segment_align: 8
    .kernarg_segment_size: 312
    .language:       OpenCL C
    .language_version:
      - 2
      - 0
    .max_flat_workgroup_size: 256
    .name:           _ZN9rocsparseL48gtsv_nopivot_strided_batch_cr_pow2_stage2_kernelILj256EfEEviiiPKT0_S3_S3_S3_PS1_
    .private_segment_fixed_size: 0
    .sgpr_count:     18
    .sgpr_spill_count: 0
    .symbol:         _ZN9rocsparseL48gtsv_nopivot_strided_batch_cr_pow2_stage2_kernelILj256EfEEviiiPKT0_S3_S3_S3_PS1_.kd
    .uniform_work_group_size: 1
    .uses_dynamic_stack: false
    .vgpr_count:     29
    .vgpr_spill_count: 0
    .wavefront_size: 32
    .workgroup_processor_mode: 1
  - .args:
      - .offset:         0
        .size:           4
        .value_kind:     by_value
      - .offset:         4
        .size:           4
        .value_kind:     by_value
      - .offset:         8
        .size:           4
        .value_kind:     by_value
      - .offset:         12
        .size:           4
        .value_kind:     by_value
      - .actual_access:  read_only
        .address_space:  global
        .offset:         16
        .size:           8
        .value_kind:     global_buffer
      - .actual_access:  read_only
        .address_space:  global
        .offset:         24
        .size:           8
        .value_kind:     global_buffer
      - .actual_access:  read_only
        .address_space:  global
        .offset:         32
        .size:           8
        .value_kind:     global_buffer
      - .actual_access:  read_only
        .address_space:  global
        .offset:         40
        .size:           8
        .value_kind:     global_buffer
      - .actual_access:  write_only
        .address_space:  global
        .offset:         48
        .size:           8
        .value_kind:     global_buffer
      - .actual_access:  write_only
        .address_space:  global
        .offset:         56
        .size:           8
        .value_kind:     global_buffer
      - .actual_access:  write_only
        .address_space:  global
        .offset:         64
        .size:           8
        .value_kind:     global_buffer
      - .actual_access:  write_only
        .address_space:  global
        .offset:         72
        .size:           8
        .value_kind:     global_buffer
    .group_segment_fixed_size: 0
    .kernarg_segment_align: 8
    .kernarg_segment_size: 80
    .language:       OpenCL C
    .language_version:
      - 2
      - 0
    .max_flat_workgroup_size: 256
    .name:           _ZN9rocsparseL44gtsv_nopivot_strided_batch_pcr_stage1_kernelILj256EfEEviiiiPKT0_S3_S3_S3_PS1_S4_S4_S4_
    .private_segment_fixed_size: 0
    .sgpr_count:     26
    .sgpr_spill_count: 0
    .symbol:         _ZN9rocsparseL44gtsv_nopivot_strided_batch_pcr_stage1_kernelILj256EfEEviiiiPKT0_S3_S3_S3_PS1_S4_S4_S4_.kd
    .uniform_work_group_size: 1
    .uses_dynamic_stack: false
    .vgpr_count:     23
    .vgpr_spill_count: 0
    .wavefront_size: 32
    .workgroup_processor_mode: 1
  - .args:
      - .offset:         0
        .size:           4
        .value_kind:     by_value
      - .offset:         4
        .size:           4
        .value_kind:     by_value
      - .offset:         8
        .size:           4
        .value_kind:     by_value
      - .actual_access:  read_only
        .address_space:  global
        .offset:         16
        .size:           8
        .value_kind:     global_buffer
      - .actual_access:  read_only
        .address_space:  global
        .offset:         24
        .size:           8
        .value_kind:     global_buffer
      - .actual_access:  read_only
        .address_space:  global
        .offset:         32
        .size:           8
        .value_kind:     global_buffer
      - .actual_access:  read_only
        .address_space:  global
        .offset:         40
        .size:           8
        .value_kind:     global_buffer
      - .actual_access:  write_only
        .address_space:  global
        .offset:         48
        .size:           8
        .value_kind:     global_buffer
      - .offset:         56
        .size:           4
        .value_kind:     hidden_block_count_x
      - .offset:         60
        .size:           4
        .value_kind:     hidden_block_count_y
      - .offset:         64
        .size:           4
        .value_kind:     hidden_block_count_z
      - .offset:         68
        .size:           2
        .value_kind:     hidden_group_size_x
      - .offset:         70
        .size:           2
        .value_kind:     hidden_group_size_y
      - .offset:         72
        .size:           2
        .value_kind:     hidden_group_size_z
      - .offset:         74
        .size:           2
        .value_kind:     hidden_remainder_x
      - .offset:         76
        .size:           2
        .value_kind:     hidden_remainder_y
      - .offset:         78
        .size:           2
        .value_kind:     hidden_remainder_z
      - .offset:         96
        .size:           8
        .value_kind:     hidden_global_offset_x
      - .offset:         104
        .size:           8
        .value_kind:     hidden_global_offset_y
      - .offset:         112
        .size:           8
        .value_kind:     hidden_global_offset_z
      - .offset:         120
        .size:           2
        .value_kind:     hidden_grid_dims
    .group_segment_fixed_size: 10240
    .kernarg_segment_align: 8
    .kernarg_segment_size: 312
    .language:       OpenCL C
    .language_version:
      - 2
      - 0
    .max_flat_workgroup_size: 512
    .name:           _ZN9rocsparseL44gtsv_nopivot_strided_batch_pcr_stage2_kernelILj512EfEEviiiPKT0_S3_S3_S3_PS1_
    .private_segment_fixed_size: 0
    .sgpr_count:     18
    .sgpr_spill_count: 0
    .symbol:         _ZN9rocsparseL44gtsv_nopivot_strided_batch_pcr_stage2_kernelILj512EfEEviiiPKT0_S3_S3_S3_PS1_.kd
    .uniform_work_group_size: 1
    .uses_dynamic_stack: false
    .vgpr_count:     25
    .vgpr_spill_count: 0
    .wavefront_size: 32
    .workgroup_processor_mode: 1
  - .args:
      - .offset:         0
        .size:           4
        .value_kind:     by_value
      - .offset:         4
        .size:           4
        .value_kind:     by_value
      - .offset:         8
        .size:           4
        .value_kind:     by_value
      - .actual_access:  read_only
        .address_space:  global
        .offset:         16
        .size:           8
        .value_kind:     global_buffer
      - .actual_access:  read_only
        .address_space:  global
        .offset:         24
        .size:           8
        .value_kind:     global_buffer
      - .actual_access:  read_only
        .address_space:  global
        .offset:         32
        .size:           8
        .value_kind:     global_buffer
      - .address_space:  global
        .offset:         40
        .size:           8
        .value_kind:     global_buffer
    .group_segment_fixed_size: 152
    .kernarg_segment_align: 8
    .kernarg_segment_size: 48
    .language:       OpenCL C
    .language_version:
      - 2
      - 0
    .max_flat_workgroup_size: 2
    .name:           _ZN9rocsparseL49gtsv_nopivot_strided_batch_pcr_pow2_shared_kernelILj2EdEEviiiPKT0_S3_S3_PS1_
    .private_segment_fixed_size: 0
    .sgpr_count:     18
    .sgpr_spill_count: 0
    .symbol:         _ZN9rocsparseL49gtsv_nopivot_strided_batch_pcr_pow2_shared_kernelILj2EdEEviiiPKT0_S3_S3_PS1_.kd
    .uniform_work_group_size: 1
    .uses_dynamic_stack: false
    .vgpr_count:     26
    .vgpr_spill_count: 0
    .wavefront_size: 32
    .workgroup_processor_mode: 1
  - .args:
      - .offset:         0
        .size:           4
        .value_kind:     by_value
      - .offset:         4
        .size:           4
        .value_kind:     by_value
      - .offset:         8
        .size:           4
        .value_kind:     by_value
      - .actual_access:  read_only
        .address_space:  global
        .offset:         16
        .size:           8
        .value_kind:     global_buffer
      - .actual_access:  read_only
        .address_space:  global
        .offset:         24
        .size:           8
        .value_kind:     global_buffer
      - .actual_access:  read_only
        .address_space:  global
        .offset:         32
        .size:           8
        .value_kind:     global_buffer
      - .address_space:  global
        .offset:         40
        .size:           8
        .value_kind:     global_buffer
    .group_segment_fixed_size: 232
    .kernarg_segment_align: 8
    .kernarg_segment_size: 48
    .language:       OpenCL C
    .language_version:
      - 2
      - 0
    .max_flat_workgroup_size: 4
    .name:           _ZN9rocsparseL49gtsv_nopivot_strided_batch_pcr_pow2_shared_kernelILj4EdEEviiiPKT0_S3_S3_PS1_
    .private_segment_fixed_size: 0
    .sgpr_count:     18
    .sgpr_spill_count: 0
    .symbol:         _ZN9rocsparseL49gtsv_nopivot_strided_batch_pcr_pow2_shared_kernelILj4EdEEviiiPKT0_S3_S3_PS1_.kd
    .uniform_work_group_size: 1
    .uses_dynamic_stack: false
    .vgpr_count:     38
    .vgpr_spill_count: 0
    .wavefront_size: 32
    .workgroup_processor_mode: 1
  - .args:
      - .offset:         0
        .size:           4
        .value_kind:     by_value
      - .offset:         4
        .size:           4
        .value_kind:     by_value
      - .offset:         8
        .size:           4
        .value_kind:     by_value
      - .actual_access:  read_only
        .address_space:  global
        .offset:         16
        .size:           8
        .value_kind:     global_buffer
      - .actual_access:  read_only
        .address_space:  global
        .offset:         24
        .size:           8
        .value_kind:     global_buffer
      - .actual_access:  read_only
        .address_space:  global
        .offset:         32
        .size:           8
        .value_kind:     global_buffer
      - .address_space:  global
        .offset:         40
        .size:           8
        .value_kind:     global_buffer
    .group_segment_fixed_size: 392
    .kernarg_segment_align: 8
    .kernarg_segment_size: 48
    .language:       OpenCL C
    .language_version:
      - 2
      - 0
    .max_flat_workgroup_size: 8
    .name:           _ZN9rocsparseL49gtsv_nopivot_strided_batch_pcr_pow2_shared_kernelILj8EdEEviiiPKT0_S3_S3_PS1_
    .private_segment_fixed_size: 0
    .sgpr_count:     18
    .sgpr_spill_count: 0
    .symbol:         _ZN9rocsparseL49gtsv_nopivot_strided_batch_pcr_pow2_shared_kernelILj8EdEEviiiPKT0_S3_S3_PS1_.kd
    .uniform_work_group_size: 1
    .uses_dynamic_stack: false
    .vgpr_count:     38
    .vgpr_spill_count: 0
    .wavefront_size: 32
    .workgroup_processor_mode: 1
  - .args:
      - .offset:         0
        .size:           4
        .value_kind:     by_value
      - .offset:         4
        .size:           4
        .value_kind:     by_value
      - .offset:         8
        .size:           4
        .value_kind:     by_value
      - .actual_access:  read_only
        .address_space:  global
        .offset:         16
        .size:           8
        .value_kind:     global_buffer
      - .actual_access:  read_only
        .address_space:  global
        .offset:         24
        .size:           8
        .value_kind:     global_buffer
      - .actual_access:  read_only
        .address_space:  global
        .offset:         32
        .size:           8
        .value_kind:     global_buffer
      - .address_space:  global
        .offset:         40
        .size:           8
        .value_kind:     global_buffer
    .group_segment_fixed_size: 712
    .kernarg_segment_align: 8
    .kernarg_segment_size: 48
    .language:       OpenCL C
    .language_version:
      - 2
      - 0
    .max_flat_workgroup_size: 16
    .name:           _ZN9rocsparseL49gtsv_nopivot_strided_batch_pcr_pow2_shared_kernelILj16EdEEviiiPKT0_S3_S3_PS1_
    .private_segment_fixed_size: 0
    .sgpr_count:     18
    .sgpr_spill_count: 0
    .symbol:         _ZN9rocsparseL49gtsv_nopivot_strided_batch_pcr_pow2_shared_kernelILj16EdEEviiiPKT0_S3_S3_PS1_.kd
    .uniform_work_group_size: 1
    .uses_dynamic_stack: false
    .vgpr_count:     38
    .vgpr_spill_count: 0
    .wavefront_size: 32
    .workgroup_processor_mode: 1
  - .args:
      - .offset:         0
        .size:           4
        .value_kind:     by_value
      - .offset:         4
        .size:           4
        .value_kind:     by_value
      - .offset:         8
        .size:           4
        .value_kind:     by_value
      - .actual_access:  read_only
        .address_space:  global
        .offset:         16
        .size:           8
        .value_kind:     global_buffer
      - .actual_access:  read_only
        .address_space:  global
        .offset:         24
        .size:           8
        .value_kind:     global_buffer
      - .actual_access:  read_only
        .address_space:  global
        .offset:         32
        .size:           8
        .value_kind:     global_buffer
      - .address_space:  global
        .offset:         40
        .size:           8
        .value_kind:     global_buffer
    .group_segment_fixed_size: 1352
    .kernarg_segment_align: 8
    .kernarg_segment_size: 48
    .language:       OpenCL C
    .language_version:
      - 2
      - 0
    .max_flat_workgroup_size: 32
    .name:           _ZN9rocsparseL49gtsv_nopivot_strided_batch_pcr_pow2_shared_kernelILj32EdEEviiiPKT0_S3_S3_PS1_
    .private_segment_fixed_size: 0
    .sgpr_count:     18
    .sgpr_spill_count: 0
    .symbol:         _ZN9rocsparseL49gtsv_nopivot_strided_batch_pcr_pow2_shared_kernelILj32EdEEviiiPKT0_S3_S3_PS1_.kd
    .uniform_work_group_size: 1
    .uses_dynamic_stack: false
    .vgpr_count:     38
    .vgpr_spill_count: 0
    .wavefront_size: 32
    .workgroup_processor_mode: 1
  - .args:
      - .offset:         0
        .size:           4
        .value_kind:     by_value
      - .offset:         4
        .size:           4
        .value_kind:     by_value
      - .offset:         8
        .size:           4
        .value_kind:     by_value
      - .actual_access:  read_only
        .address_space:  global
        .offset:         16
        .size:           8
        .value_kind:     global_buffer
      - .actual_access:  read_only
        .address_space:  global
        .offset:         24
        .size:           8
        .value_kind:     global_buffer
      - .actual_access:  read_only
        .address_space:  global
        .offset:         32
        .size:           8
        .value_kind:     global_buffer
      - .address_space:  global
        .offset:         40
        .size:           8
        .value_kind:     global_buffer
    .group_segment_fixed_size: 2632
    .kernarg_segment_align: 8
    .kernarg_segment_size: 48
    .language:       OpenCL C
    .language_version:
      - 2
      - 0
    .max_flat_workgroup_size: 64
    .name:           _ZN9rocsparseL49gtsv_nopivot_strided_batch_pcr_pow2_shared_kernelILj64EdEEviiiPKT0_S3_S3_PS1_
    .private_segment_fixed_size: 0
    .sgpr_count:     18
    .sgpr_spill_count: 0
    .symbol:         _ZN9rocsparseL49gtsv_nopivot_strided_batch_pcr_pow2_shared_kernelILj64EdEEviiiPKT0_S3_S3_PS1_.kd
    .uniform_work_group_size: 1
    .uses_dynamic_stack: false
    .vgpr_count:     39
    .vgpr_spill_count: 0
    .wavefront_size: 32
    .workgroup_processor_mode: 1
  - .args:
      - .offset:         0
        .size:           4
        .value_kind:     by_value
      - .offset:         4
        .size:           4
        .value_kind:     by_value
      - .offset:         8
        .size:           4
        .value_kind:     by_value
      - .actual_access:  read_only
        .address_space:  global
        .offset:         16
        .size:           8
        .value_kind:     global_buffer
      - .actual_access:  read_only
        .address_space:  global
        .offset:         24
        .size:           8
        .value_kind:     global_buffer
      - .actual_access:  read_only
        .address_space:  global
        .offset:         32
        .size:           8
        .value_kind:     global_buffer
      - .address_space:  global
        .offset:         40
        .size:           8
        .value_kind:     global_buffer
    .group_segment_fixed_size: 7680
    .kernarg_segment_align: 8
    .kernarg_segment_size: 48
    .language:       OpenCL C
    .language_version:
      - 2
      - 0
    .max_flat_workgroup_size: 64
    .name:           _ZN9rocsparseL51gtsv_nopivot_strided_batch_crpcr_pow2_shared_kernelILj64ELj64EdEEviiiPKT1_S3_S3_PS1_
    .private_segment_fixed_size: 0
    .sgpr_count:     18
    .sgpr_spill_count: 0
    .symbol:         _ZN9rocsparseL51gtsv_nopivot_strided_batch_crpcr_pow2_shared_kernelILj64ELj64EdEEviiiPKT1_S3_S3_PS1_.kd
    .uniform_work_group_size: 1
    .uses_dynamic_stack: false
    .vgpr_count:     48
    .vgpr_spill_count: 0
    .wavefront_size: 32
    .workgroup_processor_mode: 1
  - .args:
      - .offset:         0
        .size:           4
        .value_kind:     by_value
      - .offset:         4
        .size:           4
        .value_kind:     by_value
      - .offset:         8
        .size:           4
        .value_kind:     by_value
      - .actual_access:  read_only
        .address_space:  global
        .offset:         16
        .size:           8
        .value_kind:     global_buffer
      - .actual_access:  read_only
        .address_space:  global
        .offset:         24
        .size:           8
        .value_kind:     global_buffer
      - .actual_access:  read_only
        .address_space:  global
        .offset:         32
        .size:           8
        .value_kind:     global_buffer
      - .address_space:  global
        .offset:         40
        .size:           8
        .value_kind:     global_buffer
    .group_segment_fixed_size: 12800
    .kernarg_segment_align: 8
    .kernarg_segment_size: 48
    .language:       OpenCL C
    .language_version:
      - 2
      - 0
    .max_flat_workgroup_size: 128
    .name:           _ZN9rocsparseL51gtsv_nopivot_strided_batch_crpcr_pow2_shared_kernelILj128ELj64EdEEviiiPKT1_S3_S3_PS1_
    .private_segment_fixed_size: 0
    .sgpr_count:     18
    .sgpr_spill_count: 0
    .symbol:         _ZN9rocsparseL51gtsv_nopivot_strided_batch_crpcr_pow2_shared_kernelILj128ELj64EdEEviiiPKT1_S3_S3_PS1_.kd
    .uniform_work_group_size: 1
    .uses_dynamic_stack: false
    .vgpr_count:     46
    .vgpr_spill_count: 0
    .wavefront_size: 32
    .workgroup_processor_mode: 1
  - .args:
      - .offset:         0
        .size:           4
        .value_kind:     by_value
      - .offset:         4
        .size:           4
        .value_kind:     by_value
      - .offset:         8
        .size:           4
        .value_kind:     by_value
      - .actual_access:  read_only
        .address_space:  global
        .offset:         16
        .size:           8
        .value_kind:     global_buffer
      - .actual_access:  read_only
        .address_space:  global
        .offset:         24
        .size:           8
        .value_kind:     global_buffer
      - .actual_access:  read_only
        .address_space:  global
        .offset:         32
        .size:           8
        .value_kind:     global_buffer
      - .address_space:  global
        .offset:         40
        .size:           8
        .value_kind:     global_buffer
    .group_segment_fixed_size: 23040
    .kernarg_segment_align: 8
    .kernarg_segment_size: 48
    .language:       OpenCL C
    .language_version:
      - 2
      - 0
    .max_flat_workgroup_size: 256
    .name:           _ZN9rocsparseL51gtsv_nopivot_strided_batch_crpcr_pow2_shared_kernelILj256ELj64EdEEviiiPKT1_S3_S3_PS1_
    .private_segment_fixed_size: 0
    .sgpr_count:     18
    .sgpr_spill_count: 0
    .symbol:         _ZN9rocsparseL51gtsv_nopivot_strided_batch_crpcr_pow2_shared_kernelILj256ELj64EdEEviiiPKT1_S3_S3_PS1_.kd
    .uniform_work_group_size: 1
    .uses_dynamic_stack: false
    .vgpr_count:     46
    .vgpr_spill_count: 0
    .wavefront_size: 32
    .workgroup_processor_mode: 1
  - .args:
      - .offset:         0
        .size:           4
        .value_kind:     by_value
      - .offset:         4
        .size:           4
        .value_kind:     by_value
      - .offset:         8
        .size:           4
        .value_kind:     by_value
      - .actual_access:  read_only
        .address_space:  global
        .offset:         16
        .size:           8
        .value_kind:     global_buffer
      - .actual_access:  read_only
        .address_space:  global
        .offset:         24
        .size:           8
        .value_kind:     global_buffer
      - .actual_access:  read_only
        .address_space:  global
        .offset:         32
        .size:           8
        .value_kind:     global_buffer
      - .address_space:  global
        .offset:         40
        .size:           8
        .value_kind:     global_buffer
    .group_segment_fixed_size: 160
    .kernarg_segment_align: 8
    .kernarg_segment_size: 48
    .language:       OpenCL C
    .language_version:
      - 2
      - 0
    .max_flat_workgroup_size: 4
    .name:           _ZN9rocsparseL44gtsv_nopivot_strided_batch_pcr_shared_kernelILj4EdEEviiiPKT0_S3_S3_PS1_
    .private_segment_fixed_size: 0
    .sgpr_count:     18
    .sgpr_spill_count: 0
    .symbol:         _ZN9rocsparseL44gtsv_nopivot_strided_batch_pcr_shared_kernelILj4EdEEviiiPKT0_S3_S3_PS1_.kd
    .uniform_work_group_size: 1
    .uses_dynamic_stack: false
    .vgpr_count:     43
    .vgpr_spill_count: 0
    .wavefront_size: 32
    .workgroup_processor_mode: 1
  - .args:
      - .offset:         0
        .size:           4
        .value_kind:     by_value
      - .offset:         4
        .size:           4
        .value_kind:     by_value
      - .offset:         8
        .size:           4
        .value_kind:     by_value
      - .actual_access:  read_only
        .address_space:  global
        .offset:         16
        .size:           8
        .value_kind:     global_buffer
      - .actual_access:  read_only
        .address_space:  global
        .offset:         24
        .size:           8
        .value_kind:     global_buffer
      - .actual_access:  read_only
        .address_space:  global
        .offset:         32
        .size:           8
        .value_kind:     global_buffer
      - .address_space:  global
        .offset:         40
        .size:           8
        .value_kind:     global_buffer
    .group_segment_fixed_size: 320
    .kernarg_segment_align: 8
    .kernarg_segment_size: 48
    .language:       OpenCL C
    .language_version:
      - 2
      - 0
    .max_flat_workgroup_size: 8
    .name:           _ZN9rocsparseL44gtsv_nopivot_strided_batch_pcr_shared_kernelILj8EdEEviiiPKT0_S3_S3_PS1_
    .private_segment_fixed_size: 0
    .sgpr_count:     18
    .sgpr_spill_count: 0
    .symbol:         _ZN9rocsparseL44gtsv_nopivot_strided_batch_pcr_shared_kernelILj8EdEEviiiPKT0_S3_S3_PS1_.kd
    .uniform_work_group_size: 1
    .uses_dynamic_stack: false
    .vgpr_count:     43
    .vgpr_spill_count: 0
    .wavefront_size: 32
    .workgroup_processor_mode: 1
  - .args:
      - .offset:         0
        .size:           4
        .value_kind:     by_value
      - .offset:         4
        .size:           4
        .value_kind:     by_value
      - .offset:         8
        .size:           4
        .value_kind:     by_value
      - .actual_access:  read_only
        .address_space:  global
        .offset:         16
        .size:           8
        .value_kind:     global_buffer
      - .actual_access:  read_only
        .address_space:  global
        .offset:         24
        .size:           8
        .value_kind:     global_buffer
      - .actual_access:  read_only
        .address_space:  global
        .offset:         32
        .size:           8
        .value_kind:     global_buffer
      - .address_space:  global
        .offset:         40
        .size:           8
        .value_kind:     global_buffer
    .group_segment_fixed_size: 640
    .kernarg_segment_align: 8
    .kernarg_segment_size: 48
    .language:       OpenCL C
    .language_version:
      - 2
      - 0
    .max_flat_workgroup_size: 16
    .name:           _ZN9rocsparseL44gtsv_nopivot_strided_batch_pcr_shared_kernelILj16EdEEviiiPKT0_S3_S3_PS1_
    .private_segment_fixed_size: 0
    .sgpr_count:     18
    .sgpr_spill_count: 0
    .symbol:         _ZN9rocsparseL44gtsv_nopivot_strided_batch_pcr_shared_kernelILj16EdEEviiiPKT0_S3_S3_PS1_.kd
    .uniform_work_group_size: 1
    .uses_dynamic_stack: false
    .vgpr_count:     43
    .vgpr_spill_count: 0
    .wavefront_size: 32
    .workgroup_processor_mode: 1
  - .args:
      - .offset:         0
        .size:           4
        .value_kind:     by_value
      - .offset:         4
        .size:           4
        .value_kind:     by_value
      - .offset:         8
        .size:           4
        .value_kind:     by_value
      - .actual_access:  read_only
        .address_space:  global
        .offset:         16
        .size:           8
        .value_kind:     global_buffer
      - .actual_access:  read_only
        .address_space:  global
        .offset:         24
        .size:           8
        .value_kind:     global_buffer
      - .actual_access:  read_only
        .address_space:  global
        .offset:         32
        .size:           8
        .value_kind:     global_buffer
      - .address_space:  global
        .offset:         40
        .size:           8
        .value_kind:     global_buffer
    .group_segment_fixed_size: 1280
    .kernarg_segment_align: 8
    .kernarg_segment_size: 48
    .language:       OpenCL C
    .language_version:
      - 2
      - 0
    .max_flat_workgroup_size: 32
    .name:           _ZN9rocsparseL44gtsv_nopivot_strided_batch_pcr_shared_kernelILj32EdEEviiiPKT0_S3_S3_PS1_
    .private_segment_fixed_size: 0
    .sgpr_count:     18
    .sgpr_spill_count: 0
    .symbol:         _ZN9rocsparseL44gtsv_nopivot_strided_batch_pcr_shared_kernelILj32EdEEviiiPKT0_S3_S3_PS1_.kd
    .uniform_work_group_size: 1
    .uses_dynamic_stack: false
    .vgpr_count:     43
    .vgpr_spill_count: 0
    .wavefront_size: 32
    .workgroup_processor_mode: 1
  - .args:
      - .offset:         0
        .size:           4
        .value_kind:     by_value
      - .offset:         4
        .size:           4
        .value_kind:     by_value
      - .offset:         8
        .size:           4
        .value_kind:     by_value
      - .actual_access:  read_only
        .address_space:  global
        .offset:         16
        .size:           8
        .value_kind:     global_buffer
      - .actual_access:  read_only
        .address_space:  global
        .offset:         24
        .size:           8
        .value_kind:     global_buffer
      - .actual_access:  read_only
        .address_space:  global
        .offset:         32
        .size:           8
        .value_kind:     global_buffer
      - .address_space:  global
        .offset:         40
        .size:           8
        .value_kind:     global_buffer
    .group_segment_fixed_size: 2560
    .kernarg_segment_align: 8
    .kernarg_segment_size: 48
    .language:       OpenCL C
    .language_version:
      - 2
      - 0
    .max_flat_workgroup_size: 64
    .name:           _ZN9rocsparseL44gtsv_nopivot_strided_batch_pcr_shared_kernelILj64EdEEviiiPKT0_S3_S3_PS1_
    .private_segment_fixed_size: 0
    .sgpr_count:     18
    .sgpr_spill_count: 0
    .symbol:         _ZN9rocsparseL44gtsv_nopivot_strided_batch_pcr_shared_kernelILj64EdEEviiiPKT0_S3_S3_PS1_.kd
    .uniform_work_group_size: 1
    .uses_dynamic_stack: false
    .vgpr_count:     43
    .vgpr_spill_count: 0
    .wavefront_size: 32
    .workgroup_processor_mode: 1
  - .args:
      - .offset:         0
        .size:           4
        .value_kind:     by_value
      - .offset:         4
        .size:           4
        .value_kind:     by_value
      - .offset:         8
        .size:           4
        .value_kind:     by_value
      - .actual_access:  read_only
        .address_space:  global
        .offset:         16
        .size:           8
        .value_kind:     global_buffer
      - .actual_access:  read_only
        .address_space:  global
        .offset:         24
        .size:           8
        .value_kind:     global_buffer
      - .actual_access:  read_only
        .address_space:  global
        .offset:         32
        .size:           8
        .value_kind:     global_buffer
      - .address_space:  global
        .offset:         40
        .size:           8
        .value_kind:     global_buffer
    .group_segment_fixed_size: 5120
    .kernarg_segment_align: 8
    .kernarg_segment_size: 48
    .language:       OpenCL C
    .language_version:
      - 2
      - 0
    .max_flat_workgroup_size: 128
    .name:           _ZN9rocsparseL44gtsv_nopivot_strided_batch_pcr_shared_kernelILj128EdEEviiiPKT0_S3_S3_PS1_
    .private_segment_fixed_size: 0
    .sgpr_count:     18
    .sgpr_spill_count: 0
    .symbol:         _ZN9rocsparseL44gtsv_nopivot_strided_batch_pcr_shared_kernelILj128EdEEviiiPKT0_S3_S3_PS1_.kd
    .uniform_work_group_size: 1
    .uses_dynamic_stack: false
    .vgpr_count:     43
    .vgpr_spill_count: 0
    .wavefront_size: 32
    .workgroup_processor_mode: 1
  - .args:
      - .offset:         0
        .size:           4
        .value_kind:     by_value
      - .offset:         4
        .size:           4
        .value_kind:     by_value
      - .offset:         8
        .size:           4
        .value_kind:     by_value
      - .actual_access:  read_only
        .address_space:  global
        .offset:         16
        .size:           8
        .value_kind:     global_buffer
      - .actual_access:  read_only
        .address_space:  global
        .offset:         24
        .size:           8
        .value_kind:     global_buffer
      - .actual_access:  read_only
        .address_space:  global
        .offset:         32
        .size:           8
        .value_kind:     global_buffer
      - .address_space:  global
        .offset:         40
        .size:           8
        .value_kind:     global_buffer
    .group_segment_fixed_size: 10240
    .kernarg_segment_align: 8
    .kernarg_segment_size: 48
    .language:       OpenCL C
    .language_version:
      - 2
      - 0
    .max_flat_workgroup_size: 256
    .name:           _ZN9rocsparseL44gtsv_nopivot_strided_batch_pcr_shared_kernelILj256EdEEviiiPKT0_S3_S3_PS1_
    .private_segment_fixed_size: 0
    .sgpr_count:     18
    .sgpr_spill_count: 0
    .symbol:         _ZN9rocsparseL44gtsv_nopivot_strided_batch_pcr_shared_kernelILj256EdEEviiiPKT0_S3_S3_PS1_.kd
    .uniform_work_group_size: 1
    .uses_dynamic_stack: false
    .vgpr_count:     43
    .vgpr_spill_count: 0
    .wavefront_size: 32
    .workgroup_processor_mode: 1
  - .args:
      - .offset:         0
        .size:           4
        .value_kind:     by_value
      - .offset:         4
        .size:           4
        .value_kind:     by_value
      - .offset:         8
        .size:           4
        .value_kind:     by_value
      - .actual_access:  read_only
        .address_space:  global
        .offset:         16
        .size:           8
        .value_kind:     global_buffer
      - .actual_access:  read_only
        .address_space:  global
        .offset:         24
        .size:           8
        .value_kind:     global_buffer
      - .actual_access:  read_only
        .address_space:  global
        .offset:         32
        .size:           8
        .value_kind:     global_buffer
      - .address_space:  global
        .offset:         40
        .size:           8
        .value_kind:     global_buffer
    .group_segment_fixed_size: 20480
    .kernarg_segment_align: 8
    .kernarg_segment_size: 48
    .language:       OpenCL C
    .language_version:
      - 2
      - 0
    .max_flat_workgroup_size: 512
    .name:           _ZN9rocsparseL44gtsv_nopivot_strided_batch_pcr_shared_kernelILj512EdEEviiiPKT0_S3_S3_PS1_
    .private_segment_fixed_size: 0
    .sgpr_count:     18
    .sgpr_spill_count: 0
    .symbol:         _ZN9rocsparseL44gtsv_nopivot_strided_batch_pcr_shared_kernelILj512EdEEviiiPKT0_S3_S3_PS1_.kd
    .uniform_work_group_size: 1
    .uses_dynamic_stack: false
    .vgpr_count:     43
    .vgpr_spill_count: 0
    .wavefront_size: 32
    .workgroup_processor_mode: 1
  - .args:
      - .offset:         0
        .size:           4
        .value_kind:     by_value
      - .offset:         4
        .size:           4
        .value_kind:     by_value
      - .offset:         8
        .size:           4
        .value_kind:     by_value
      - .offset:         12
        .size:           4
        .value_kind:     by_value
      - .actual_access:  read_only
        .address_space:  global
        .offset:         16
        .size:           8
        .value_kind:     global_buffer
      - .actual_access:  read_only
        .address_space:  global
        .offset:         24
        .size:           8
        .value_kind:     global_buffer
      - .actual_access:  read_only
        .address_space:  global
        .offset:         32
        .size:           8
        .value_kind:     global_buffer
      - .actual_access:  read_only
        .address_space:  global
        .offset:         40
        .size:           8
        .value_kind:     global_buffer
      - .actual_access:  write_only
        .address_space:  global
        .offset:         48
        .size:           8
        .value_kind:     global_buffer
      - .actual_access:  write_only
        .address_space:  global
        .offset:         56
        .size:           8
        .value_kind:     global_buffer
      - .actual_access:  write_only
        .address_space:  global
        .offset:         64
        .size:           8
        .value_kind:     global_buffer
      - .actual_access:  write_only
        .address_space:  global
        .offset:         72
        .size:           8
        .value_kind:     global_buffer
    .group_segment_fixed_size: 0
    .kernarg_segment_align: 8
    .kernarg_segment_size: 80
    .language:       OpenCL C
    .language_version:
      - 2
      - 0
    .max_flat_workgroup_size: 256
    .name:           _ZN9rocsparseL49gtsv_nopivot_strided_batch_pcr_pow2_stage1_kernelILj256EdEEviiiiPKT0_S3_S3_S3_PS1_S4_S4_S4_
    .private_segment_fixed_size: 0
    .sgpr_count:     26
    .sgpr_spill_count: 0
    .symbol:         _ZN9rocsparseL49gtsv_nopivot_strided_batch_pcr_pow2_stage1_kernelILj256EdEEviiiiPKT0_S3_S3_S3_PS1_S4_S4_S4_.kd
    .uniform_work_group_size: 1
    .uses_dynamic_stack: false
    .vgpr_count:     42
    .vgpr_spill_count: 0
    .wavefront_size: 32
    .workgroup_processor_mode: 1
  - .args:
      - .offset:         0
        .size:           4
        .value_kind:     by_value
      - .offset:         4
        .size:           4
        .value_kind:     by_value
      - .offset:         8
        .size:           4
        .value_kind:     by_value
      - .actual_access:  read_only
        .address_space:  global
        .offset:         16
        .size:           8
        .value_kind:     global_buffer
      - .actual_access:  read_only
        .address_space:  global
        .offset:         24
        .size:           8
        .value_kind:     global_buffer
      - .actual_access:  read_only
        .address_space:  global
        .offset:         32
        .size:           8
        .value_kind:     global_buffer
      - .actual_access:  read_only
        .address_space:  global
        .offset:         40
        .size:           8
        .value_kind:     global_buffer
      - .actual_access:  write_only
        .address_space:  global
        .offset:         48
        .size:           8
        .value_kind:     global_buffer
      - .offset:         56
        .size:           4
        .value_kind:     hidden_block_count_x
      - .offset:         60
        .size:           4
        .value_kind:     hidden_block_count_y
      - .offset:         64
        .size:           4
        .value_kind:     hidden_block_count_z
      - .offset:         68
        .size:           2
        .value_kind:     hidden_group_size_x
      - .offset:         70
        .size:           2
        .value_kind:     hidden_group_size_y
      - .offset:         72
        .size:           2
        .value_kind:     hidden_group_size_z
      - .offset:         74
        .size:           2
        .value_kind:     hidden_remainder_x
      - .offset:         76
        .size:           2
        .value_kind:     hidden_remainder_y
      - .offset:         78
        .size:           2
        .value_kind:     hidden_remainder_z
      - .offset:         96
        .size:           8
        .value_kind:     hidden_global_offset_x
      - .offset:         104
        .size:           8
        .value_kind:     hidden_global_offset_y
      - .offset:         112
        .size:           8
        .value_kind:     hidden_global_offset_z
      - .offset:         120
        .size:           2
        .value_kind:     hidden_grid_dims
    .group_segment_fixed_size: 20480
    .kernarg_segment_align: 8
    .kernarg_segment_size: 312
    .language:       OpenCL C
    .language_version:
      - 2
      - 0
    .max_flat_workgroup_size: 256
    .name:           _ZN9rocsparseL48gtsv_nopivot_strided_batch_cr_pow2_stage2_kernelILj256EdEEviiiPKT0_S3_S3_S3_PS1_
    .private_segment_fixed_size: 0
    .sgpr_count:     18
    .sgpr_spill_count: 0
    .symbol:         _ZN9rocsparseL48gtsv_nopivot_strided_batch_cr_pow2_stage2_kernelILj256EdEEviiiPKT0_S3_S3_S3_PS1_.kd
    .uniform_work_group_size: 1
    .uses_dynamic_stack: false
    .vgpr_count:     43
    .vgpr_spill_count: 0
    .wavefront_size: 32
    .workgroup_processor_mode: 1
  - .args:
      - .offset:         0
        .size:           4
        .value_kind:     by_value
      - .offset:         4
        .size:           4
        .value_kind:     by_value
      - .offset:         8
        .size:           4
        .value_kind:     by_value
      - .offset:         12
        .size:           4
        .value_kind:     by_value
      - .actual_access:  read_only
        .address_space:  global
        .offset:         16
        .size:           8
        .value_kind:     global_buffer
      - .actual_access:  read_only
        .address_space:  global
        .offset:         24
        .size:           8
        .value_kind:     global_buffer
      - .actual_access:  read_only
        .address_space:  global
        .offset:         32
        .size:           8
        .value_kind:     global_buffer
      - .actual_access:  read_only
        .address_space:  global
        .offset:         40
        .size:           8
        .value_kind:     global_buffer
      - .actual_access:  write_only
        .address_space:  global
        .offset:         48
        .size:           8
        .value_kind:     global_buffer
      - .actual_access:  write_only
        .address_space:  global
        .offset:         56
        .size:           8
        .value_kind:     global_buffer
      - .actual_access:  write_only
        .address_space:  global
        .offset:         64
        .size:           8
        .value_kind:     global_buffer
      - .actual_access:  write_only
        .address_space:  global
        .offset:         72
        .size:           8
        .value_kind:     global_buffer
    .group_segment_fixed_size: 0
    .kernarg_segment_align: 8
    .kernarg_segment_size: 80
    .language:       OpenCL C
    .language_version:
      - 2
      - 0
    .max_flat_workgroup_size: 256
    .name:           _ZN9rocsparseL44gtsv_nopivot_strided_batch_pcr_stage1_kernelILj256EdEEviiiiPKT0_S3_S3_S3_PS1_S4_S4_S4_
    .private_segment_fixed_size: 0
    .sgpr_count:     26
    .sgpr_spill_count: 0
    .symbol:         _ZN9rocsparseL44gtsv_nopivot_strided_batch_pcr_stage1_kernelILj256EdEEviiiiPKT0_S3_S3_S3_PS1_S4_S4_S4_.kd
    .uniform_work_group_size: 1
    .uses_dynamic_stack: false
    .vgpr_count:     42
    .vgpr_spill_count: 0
    .wavefront_size: 32
    .workgroup_processor_mode: 1
  - .args:
      - .offset:         0
        .size:           4
        .value_kind:     by_value
      - .offset:         4
        .size:           4
        .value_kind:     by_value
      - .offset:         8
        .size:           4
        .value_kind:     by_value
      - .actual_access:  read_only
        .address_space:  global
        .offset:         16
        .size:           8
        .value_kind:     global_buffer
      - .actual_access:  read_only
        .address_space:  global
        .offset:         24
        .size:           8
        .value_kind:     global_buffer
      - .actual_access:  read_only
        .address_space:  global
        .offset:         32
        .size:           8
        .value_kind:     global_buffer
      - .actual_access:  read_only
        .address_space:  global
        .offset:         40
        .size:           8
        .value_kind:     global_buffer
      - .actual_access:  write_only
        .address_space:  global
        .offset:         48
        .size:           8
        .value_kind:     global_buffer
      - .offset:         56
        .size:           4
        .value_kind:     hidden_block_count_x
      - .offset:         60
        .size:           4
        .value_kind:     hidden_block_count_y
      - .offset:         64
        .size:           4
        .value_kind:     hidden_block_count_z
      - .offset:         68
        .size:           2
        .value_kind:     hidden_group_size_x
      - .offset:         70
        .size:           2
        .value_kind:     hidden_group_size_y
      - .offset:         72
        .size:           2
        .value_kind:     hidden_group_size_z
      - .offset:         74
        .size:           2
        .value_kind:     hidden_remainder_x
      - .offset:         76
        .size:           2
        .value_kind:     hidden_remainder_y
      - .offset:         78
        .size:           2
        .value_kind:     hidden_remainder_z
      - .offset:         96
        .size:           8
        .value_kind:     hidden_global_offset_x
      - .offset:         104
        .size:           8
        .value_kind:     hidden_global_offset_y
      - .offset:         112
        .size:           8
        .value_kind:     hidden_global_offset_z
      - .offset:         120
        .size:           2
        .value_kind:     hidden_grid_dims
    .group_segment_fixed_size: 20480
    .kernarg_segment_align: 8
    .kernarg_segment_size: 312
    .language:       OpenCL C
    .language_version:
      - 2
      - 0
    .max_flat_workgroup_size: 512
    .name:           _ZN9rocsparseL44gtsv_nopivot_strided_batch_pcr_stage2_kernelILj512EdEEviiiPKT0_S3_S3_S3_PS1_
    .private_segment_fixed_size: 0
    .sgpr_count:     18
    .sgpr_spill_count: 0
    .symbol:         _ZN9rocsparseL44gtsv_nopivot_strided_batch_pcr_stage2_kernelILj512EdEEviiiPKT0_S3_S3_S3_PS1_.kd
    .uniform_work_group_size: 1
    .uses_dynamic_stack: false
    .vgpr_count:     37
    .vgpr_spill_count: 0
    .wavefront_size: 32
    .workgroup_processor_mode: 1
  - .args:
      - .offset:         0
        .size:           4
        .value_kind:     by_value
      - .offset:         4
        .size:           4
        .value_kind:     by_value
      - .offset:         8
        .size:           4
        .value_kind:     by_value
      - .actual_access:  read_only
        .address_space:  global
        .offset:         16
        .size:           8
        .value_kind:     global_buffer
      - .actual_access:  read_only
        .address_space:  global
        .offset:         24
        .size:           8
        .value_kind:     global_buffer
      - .actual_access:  read_only
        .address_space:  global
        .offset:         32
        .size:           8
        .value_kind:     global_buffer
      - .address_space:  global
        .offset:         40
        .size:           8
        .value_kind:     global_buffer
    .group_segment_fixed_size: 152
    .kernarg_segment_align: 8
    .kernarg_segment_size: 48
    .language:       OpenCL C
    .language_version:
      - 2
      - 0
    .max_flat_workgroup_size: 2
    .name:           _ZN9rocsparseL49gtsv_nopivot_strided_batch_pcr_pow2_shared_kernelILj2E21rocsparse_complex_numIfEEEviiiPKT0_S5_S5_PS3_
    .private_segment_fixed_size: 0
    .sgpr_count:     18
    .sgpr_spill_count: 0
    .symbol:         _ZN9rocsparseL49gtsv_nopivot_strided_batch_pcr_pow2_shared_kernelILj2E21rocsparse_complex_numIfEEEviiiPKT0_S5_S5_PS3_.kd
    .uniform_work_group_size: 1
    .uses_dynamic_stack: false
    .vgpr_count:     29
    .vgpr_spill_count: 0
    .wavefront_size: 32
    .workgroup_processor_mode: 1
  - .args:
      - .offset:         0
        .size:           4
        .value_kind:     by_value
      - .offset:         4
        .size:           4
        .value_kind:     by_value
      - .offset:         8
        .size:           4
        .value_kind:     by_value
      - .actual_access:  read_only
        .address_space:  global
        .offset:         16
        .size:           8
        .value_kind:     global_buffer
      - .actual_access:  read_only
        .address_space:  global
        .offset:         24
        .size:           8
        .value_kind:     global_buffer
      - .actual_access:  read_only
        .address_space:  global
        .offset:         32
        .size:           8
        .value_kind:     global_buffer
      - .address_space:  global
        .offset:         40
        .size:           8
        .value_kind:     global_buffer
    .group_segment_fixed_size: 232
    .kernarg_segment_align: 8
    .kernarg_segment_size: 48
    .language:       OpenCL C
    .language_version:
      - 2
      - 0
    .max_flat_workgroup_size: 4
    .name:           _ZN9rocsparseL49gtsv_nopivot_strided_batch_pcr_pow2_shared_kernelILj4E21rocsparse_complex_numIfEEEviiiPKT0_S5_S5_PS3_
    .private_segment_fixed_size: 0
    .sgpr_count:     18
    .sgpr_spill_count: 0
    .symbol:         _ZN9rocsparseL49gtsv_nopivot_strided_batch_pcr_pow2_shared_kernelILj4E21rocsparse_complex_numIfEEEviiiPKT0_S5_S5_PS3_.kd
    .uniform_work_group_size: 1
    .uses_dynamic_stack: false
    .vgpr_count:     40
    .vgpr_spill_count: 0
    .wavefront_size: 32
    .workgroup_processor_mode: 1
  - .args:
      - .offset:         0
        .size:           4
        .value_kind:     by_value
      - .offset:         4
        .size:           4
        .value_kind:     by_value
      - .offset:         8
        .size:           4
        .value_kind:     by_value
      - .actual_access:  read_only
        .address_space:  global
        .offset:         16
        .size:           8
        .value_kind:     global_buffer
      - .actual_access:  read_only
        .address_space:  global
        .offset:         24
        .size:           8
        .value_kind:     global_buffer
      - .actual_access:  read_only
        .address_space:  global
        .offset:         32
        .size:           8
        .value_kind:     global_buffer
      - .address_space:  global
        .offset:         40
        .size:           8
        .value_kind:     global_buffer
    .group_segment_fixed_size: 392
    .kernarg_segment_align: 8
    .kernarg_segment_size: 48
    .language:       OpenCL C
    .language_version:
      - 2
      - 0
    .max_flat_workgroup_size: 8
    .name:           _ZN9rocsparseL49gtsv_nopivot_strided_batch_pcr_pow2_shared_kernelILj8E21rocsparse_complex_numIfEEEviiiPKT0_S5_S5_PS3_
    .private_segment_fixed_size: 0
    .sgpr_count:     18
    .sgpr_spill_count: 0
    .symbol:         _ZN9rocsparseL49gtsv_nopivot_strided_batch_pcr_pow2_shared_kernelILj8E21rocsparse_complex_numIfEEEviiiPKT0_S5_S5_PS3_.kd
    .uniform_work_group_size: 1
    .uses_dynamic_stack: false
    .vgpr_count:     42
    .vgpr_spill_count: 0
    .wavefront_size: 32
    .workgroup_processor_mode: 1
  - .args:
      - .offset:         0
        .size:           4
        .value_kind:     by_value
      - .offset:         4
        .size:           4
        .value_kind:     by_value
      - .offset:         8
        .size:           4
        .value_kind:     by_value
      - .actual_access:  read_only
        .address_space:  global
        .offset:         16
        .size:           8
        .value_kind:     global_buffer
      - .actual_access:  read_only
        .address_space:  global
        .offset:         24
        .size:           8
        .value_kind:     global_buffer
      - .actual_access:  read_only
        .address_space:  global
        .offset:         32
        .size:           8
        .value_kind:     global_buffer
      - .address_space:  global
        .offset:         40
        .size:           8
        .value_kind:     global_buffer
    .group_segment_fixed_size: 712
    .kernarg_segment_align: 8
    .kernarg_segment_size: 48
    .language:       OpenCL C
    .language_version:
      - 2
      - 0
    .max_flat_workgroup_size: 16
    .name:           _ZN9rocsparseL49gtsv_nopivot_strided_batch_pcr_pow2_shared_kernelILj16E21rocsparse_complex_numIfEEEviiiPKT0_S5_S5_PS3_
    .private_segment_fixed_size: 0
    .sgpr_count:     18
    .sgpr_spill_count: 0
    .symbol:         _ZN9rocsparseL49gtsv_nopivot_strided_batch_pcr_pow2_shared_kernelILj16E21rocsparse_complex_numIfEEEviiiPKT0_S5_S5_PS3_.kd
    .uniform_work_group_size: 1
    .uses_dynamic_stack: false
    .vgpr_count:     43
    .vgpr_spill_count: 0
    .wavefront_size: 32
    .workgroup_processor_mode: 1
  - .args:
      - .offset:         0
        .size:           4
        .value_kind:     by_value
      - .offset:         4
        .size:           4
        .value_kind:     by_value
      - .offset:         8
        .size:           4
        .value_kind:     by_value
      - .actual_access:  read_only
        .address_space:  global
        .offset:         16
        .size:           8
        .value_kind:     global_buffer
      - .actual_access:  read_only
        .address_space:  global
        .offset:         24
        .size:           8
        .value_kind:     global_buffer
      - .actual_access:  read_only
        .address_space:  global
        .offset:         32
        .size:           8
        .value_kind:     global_buffer
      - .address_space:  global
        .offset:         40
        .size:           8
        .value_kind:     global_buffer
    .group_segment_fixed_size: 1352
    .kernarg_segment_align: 8
    .kernarg_segment_size: 48
    .language:       OpenCL C
    .language_version:
      - 2
      - 0
    .max_flat_workgroup_size: 32
    .name:           _ZN9rocsparseL49gtsv_nopivot_strided_batch_pcr_pow2_shared_kernelILj32E21rocsparse_complex_numIfEEEviiiPKT0_S5_S5_PS3_
    .private_segment_fixed_size: 0
    .sgpr_count:     18
    .sgpr_spill_count: 0
    .symbol:         _ZN9rocsparseL49gtsv_nopivot_strided_batch_pcr_pow2_shared_kernelILj32E21rocsparse_complex_numIfEEEviiiPKT0_S5_S5_PS3_.kd
    .uniform_work_group_size: 1
    .uses_dynamic_stack: false
    .vgpr_count:     43
    .vgpr_spill_count: 0
    .wavefront_size: 32
    .workgroup_processor_mode: 1
  - .args:
      - .offset:         0
        .size:           4
        .value_kind:     by_value
      - .offset:         4
        .size:           4
        .value_kind:     by_value
      - .offset:         8
        .size:           4
        .value_kind:     by_value
      - .actual_access:  read_only
        .address_space:  global
        .offset:         16
        .size:           8
        .value_kind:     global_buffer
      - .actual_access:  read_only
        .address_space:  global
        .offset:         24
        .size:           8
        .value_kind:     global_buffer
      - .actual_access:  read_only
        .address_space:  global
        .offset:         32
        .size:           8
        .value_kind:     global_buffer
      - .address_space:  global
        .offset:         40
        .size:           8
        .value_kind:     global_buffer
    .group_segment_fixed_size: 2632
    .kernarg_segment_align: 8
    .kernarg_segment_size: 48
    .language:       OpenCL C
    .language_version:
      - 2
      - 0
    .max_flat_workgroup_size: 64
    .name:           _ZN9rocsparseL49gtsv_nopivot_strided_batch_pcr_pow2_shared_kernelILj64E21rocsparse_complex_numIfEEEviiiPKT0_S5_S5_PS3_
    .private_segment_fixed_size: 0
    .sgpr_count:     18
    .sgpr_spill_count: 0
    .symbol:         _ZN9rocsparseL49gtsv_nopivot_strided_batch_pcr_pow2_shared_kernelILj64E21rocsparse_complex_numIfEEEviiiPKT0_S5_S5_PS3_.kd
    .uniform_work_group_size: 1
    .uses_dynamic_stack: false
    .vgpr_count:     44
    .vgpr_spill_count: 0
    .wavefront_size: 32
    .workgroup_processor_mode: 1
  - .args:
      - .offset:         0
        .size:           4
        .value_kind:     by_value
      - .offset:         4
        .size:           4
        .value_kind:     by_value
      - .offset:         8
        .size:           4
        .value_kind:     by_value
      - .actual_access:  read_only
        .address_space:  global
        .offset:         16
        .size:           8
        .value_kind:     global_buffer
      - .actual_access:  read_only
        .address_space:  global
        .offset:         24
        .size:           8
        .value_kind:     global_buffer
      - .actual_access:  read_only
        .address_space:  global
        .offset:         32
        .size:           8
        .value_kind:     global_buffer
      - .address_space:  global
        .offset:         40
        .size:           8
        .value_kind:     global_buffer
    .group_segment_fixed_size: 7680
    .kernarg_segment_align: 8
    .kernarg_segment_size: 48
    .language:       OpenCL C
    .language_version:
      - 2
      - 0
    .max_flat_workgroup_size: 64
    .name:           _ZN9rocsparseL51gtsv_nopivot_strided_batch_crpcr_pow2_shared_kernelILj64ELj64E21rocsparse_complex_numIfEEEviiiPKT1_S5_S5_PS3_
    .private_segment_fixed_size: 0
    .sgpr_count:     18
    .sgpr_spill_count: 0
    .symbol:         _ZN9rocsparseL51gtsv_nopivot_strided_batch_crpcr_pow2_shared_kernelILj64ELj64E21rocsparse_complex_numIfEEEviiiPKT1_S5_S5_PS3_.kd
    .uniform_work_group_size: 1
    .uses_dynamic_stack: false
    .vgpr_count:     48
    .vgpr_spill_count: 0
    .wavefront_size: 32
    .workgroup_processor_mode: 1
  - .args:
      - .offset:         0
        .size:           4
        .value_kind:     by_value
      - .offset:         4
        .size:           4
        .value_kind:     by_value
      - .offset:         8
        .size:           4
        .value_kind:     by_value
      - .actual_access:  read_only
        .address_space:  global
        .offset:         16
        .size:           8
        .value_kind:     global_buffer
      - .actual_access:  read_only
        .address_space:  global
        .offset:         24
        .size:           8
        .value_kind:     global_buffer
      - .actual_access:  read_only
        .address_space:  global
        .offset:         32
        .size:           8
        .value_kind:     global_buffer
      - .address_space:  global
        .offset:         40
        .size:           8
        .value_kind:     global_buffer
    .group_segment_fixed_size: 12800
    .kernarg_segment_align: 8
    .kernarg_segment_size: 48
    .language:       OpenCL C
    .language_version:
      - 2
      - 0
    .max_flat_workgroup_size: 128
    .name:           _ZN9rocsparseL51gtsv_nopivot_strided_batch_crpcr_pow2_shared_kernelILj128ELj64E21rocsparse_complex_numIfEEEviiiPKT1_S5_S5_PS3_
    .private_segment_fixed_size: 0
    .sgpr_count:     18
    .sgpr_spill_count: 0
    .symbol:         _ZN9rocsparseL51gtsv_nopivot_strided_batch_crpcr_pow2_shared_kernelILj128ELj64E21rocsparse_complex_numIfEEEviiiPKT1_S5_S5_PS3_.kd
    .uniform_work_group_size: 1
    .uses_dynamic_stack: false
    .vgpr_count:     47
    .vgpr_spill_count: 0
    .wavefront_size: 32
    .workgroup_processor_mode: 1
  - .args:
      - .offset:         0
        .size:           4
        .value_kind:     by_value
      - .offset:         4
        .size:           4
        .value_kind:     by_value
      - .offset:         8
        .size:           4
        .value_kind:     by_value
      - .actual_access:  read_only
        .address_space:  global
        .offset:         16
        .size:           8
        .value_kind:     global_buffer
      - .actual_access:  read_only
        .address_space:  global
        .offset:         24
        .size:           8
        .value_kind:     global_buffer
      - .actual_access:  read_only
        .address_space:  global
        .offset:         32
        .size:           8
        .value_kind:     global_buffer
      - .address_space:  global
        .offset:         40
        .size:           8
        .value_kind:     global_buffer
    .group_segment_fixed_size: 23040
    .kernarg_segment_align: 8
    .kernarg_segment_size: 48
    .language:       OpenCL C
    .language_version:
      - 2
      - 0
    .max_flat_workgroup_size: 256
    .name:           _ZN9rocsparseL51gtsv_nopivot_strided_batch_crpcr_pow2_shared_kernelILj256ELj64E21rocsparse_complex_numIfEEEviiiPKT1_S5_S5_PS3_
    .private_segment_fixed_size: 0
    .sgpr_count:     18
    .sgpr_spill_count: 0
    .symbol:         _ZN9rocsparseL51gtsv_nopivot_strided_batch_crpcr_pow2_shared_kernelILj256ELj64E21rocsparse_complex_numIfEEEviiiPKT1_S5_S5_PS3_.kd
    .uniform_work_group_size: 1
    .uses_dynamic_stack: false
    .vgpr_count:     47
    .vgpr_spill_count: 0
    .wavefront_size: 32
    .workgroup_processor_mode: 1
  - .args:
      - .offset:         0
        .size:           4
        .value_kind:     by_value
      - .offset:         4
        .size:           4
        .value_kind:     by_value
      - .offset:         8
        .size:           4
        .value_kind:     by_value
      - .actual_access:  read_only
        .address_space:  global
        .offset:         16
        .size:           8
        .value_kind:     global_buffer
      - .actual_access:  read_only
        .address_space:  global
        .offset:         24
        .size:           8
        .value_kind:     global_buffer
      - .actual_access:  read_only
        .address_space:  global
        .offset:         32
        .size:           8
        .value_kind:     global_buffer
      - .address_space:  global
        .offset:         40
        .size:           8
        .value_kind:     global_buffer
    .group_segment_fixed_size: 160
    .kernarg_segment_align: 8
    .kernarg_segment_size: 48
    .language:       OpenCL C
    .language_version:
      - 2
      - 0
    .max_flat_workgroup_size: 4
    .name:           _ZN9rocsparseL44gtsv_nopivot_strided_batch_pcr_shared_kernelILj4E21rocsparse_complex_numIfEEEviiiPKT0_S5_S5_PS3_
    .private_segment_fixed_size: 0
    .sgpr_count:     18
    .sgpr_spill_count: 0
    .symbol:         _ZN9rocsparseL44gtsv_nopivot_strided_batch_pcr_shared_kernelILj4E21rocsparse_complex_numIfEEEviiiPKT0_S5_S5_PS3_.kd
    .uniform_work_group_size: 1
    .uses_dynamic_stack: false
    .vgpr_count:     42
    .vgpr_spill_count: 0
    .wavefront_size: 32
    .workgroup_processor_mode: 1
  - .args:
      - .offset:         0
        .size:           4
        .value_kind:     by_value
      - .offset:         4
        .size:           4
        .value_kind:     by_value
      - .offset:         8
        .size:           4
        .value_kind:     by_value
      - .actual_access:  read_only
        .address_space:  global
        .offset:         16
        .size:           8
        .value_kind:     global_buffer
      - .actual_access:  read_only
        .address_space:  global
        .offset:         24
        .size:           8
        .value_kind:     global_buffer
      - .actual_access:  read_only
        .address_space:  global
        .offset:         32
        .size:           8
        .value_kind:     global_buffer
      - .address_space:  global
        .offset:         40
        .size:           8
        .value_kind:     global_buffer
    .group_segment_fixed_size: 320
    .kernarg_segment_align: 8
    .kernarg_segment_size: 48
    .language:       OpenCL C
    .language_version:
      - 2
      - 0
    .max_flat_workgroup_size: 8
    .name:           _ZN9rocsparseL44gtsv_nopivot_strided_batch_pcr_shared_kernelILj8E21rocsparse_complex_numIfEEEviiiPKT0_S5_S5_PS3_
    .private_segment_fixed_size: 0
    .sgpr_count:     18
    .sgpr_spill_count: 0
    .symbol:         _ZN9rocsparseL44gtsv_nopivot_strided_batch_pcr_shared_kernelILj8E21rocsparse_complex_numIfEEEviiiPKT0_S5_S5_PS3_.kd
    .uniform_work_group_size: 1
    .uses_dynamic_stack: false
    .vgpr_count:     44
    .vgpr_spill_count: 0
    .wavefront_size: 32
    .workgroup_processor_mode: 1
  - .args:
      - .offset:         0
        .size:           4
        .value_kind:     by_value
      - .offset:         4
        .size:           4
        .value_kind:     by_value
      - .offset:         8
        .size:           4
        .value_kind:     by_value
      - .actual_access:  read_only
        .address_space:  global
        .offset:         16
        .size:           8
        .value_kind:     global_buffer
      - .actual_access:  read_only
        .address_space:  global
        .offset:         24
        .size:           8
        .value_kind:     global_buffer
      - .actual_access:  read_only
        .address_space:  global
        .offset:         32
        .size:           8
        .value_kind:     global_buffer
      - .address_space:  global
        .offset:         40
        .size:           8
        .value_kind:     global_buffer
    .group_segment_fixed_size: 640
    .kernarg_segment_align: 8
    .kernarg_segment_size: 48
    .language:       OpenCL C
    .language_version:
      - 2
      - 0
    .max_flat_workgroup_size: 16
    .name:           _ZN9rocsparseL44gtsv_nopivot_strided_batch_pcr_shared_kernelILj16E21rocsparse_complex_numIfEEEviiiPKT0_S5_S5_PS3_
    .private_segment_fixed_size: 0
    .sgpr_count:     18
    .sgpr_spill_count: 0
    .symbol:         _ZN9rocsparseL44gtsv_nopivot_strided_batch_pcr_shared_kernelILj16E21rocsparse_complex_numIfEEEviiiPKT0_S5_S5_PS3_.kd
    .uniform_work_group_size: 1
    .uses_dynamic_stack: false
    .vgpr_count:     46
    .vgpr_spill_count: 0
    .wavefront_size: 32
    .workgroup_processor_mode: 1
  - .args:
      - .offset:         0
        .size:           4
        .value_kind:     by_value
      - .offset:         4
        .size:           4
        .value_kind:     by_value
      - .offset:         8
        .size:           4
        .value_kind:     by_value
      - .actual_access:  read_only
        .address_space:  global
        .offset:         16
        .size:           8
        .value_kind:     global_buffer
      - .actual_access:  read_only
        .address_space:  global
        .offset:         24
        .size:           8
        .value_kind:     global_buffer
      - .actual_access:  read_only
        .address_space:  global
        .offset:         32
        .size:           8
        .value_kind:     global_buffer
      - .address_space:  global
        .offset:         40
        .size:           8
        .value_kind:     global_buffer
    .group_segment_fixed_size: 1280
    .kernarg_segment_align: 8
    .kernarg_segment_size: 48
    .language:       OpenCL C
    .language_version:
      - 2
      - 0
    .max_flat_workgroup_size: 32
    .name:           _ZN9rocsparseL44gtsv_nopivot_strided_batch_pcr_shared_kernelILj32E21rocsparse_complex_numIfEEEviiiPKT0_S5_S5_PS3_
    .private_segment_fixed_size: 0
    .sgpr_count:     18
    .sgpr_spill_count: 0
    .symbol:         _ZN9rocsparseL44gtsv_nopivot_strided_batch_pcr_shared_kernelILj32E21rocsparse_complex_numIfEEEviiiPKT0_S5_S5_PS3_.kd
    .uniform_work_group_size: 1
    .uses_dynamic_stack: false
    .vgpr_count:     46
    .vgpr_spill_count: 0
    .wavefront_size: 32
    .workgroup_processor_mode: 1
  - .args:
      - .offset:         0
        .size:           4
        .value_kind:     by_value
      - .offset:         4
        .size:           4
        .value_kind:     by_value
      - .offset:         8
        .size:           4
        .value_kind:     by_value
      - .actual_access:  read_only
        .address_space:  global
        .offset:         16
        .size:           8
        .value_kind:     global_buffer
      - .actual_access:  read_only
        .address_space:  global
        .offset:         24
        .size:           8
        .value_kind:     global_buffer
      - .actual_access:  read_only
        .address_space:  global
        .offset:         32
        .size:           8
        .value_kind:     global_buffer
      - .address_space:  global
        .offset:         40
        .size:           8
        .value_kind:     global_buffer
    .group_segment_fixed_size: 2560
    .kernarg_segment_align: 8
    .kernarg_segment_size: 48
    .language:       OpenCL C
    .language_version:
      - 2
      - 0
    .max_flat_workgroup_size: 64
    .name:           _ZN9rocsparseL44gtsv_nopivot_strided_batch_pcr_shared_kernelILj64E21rocsparse_complex_numIfEEEviiiPKT0_S5_S5_PS3_
    .private_segment_fixed_size: 0
    .sgpr_count:     18
    .sgpr_spill_count: 0
    .symbol:         _ZN9rocsparseL44gtsv_nopivot_strided_batch_pcr_shared_kernelILj64E21rocsparse_complex_numIfEEEviiiPKT0_S5_S5_PS3_.kd
    .uniform_work_group_size: 1
    .uses_dynamic_stack: false
    .vgpr_count:     45
    .vgpr_spill_count: 0
    .wavefront_size: 32
    .workgroup_processor_mode: 1
  - .args:
      - .offset:         0
        .size:           4
        .value_kind:     by_value
      - .offset:         4
        .size:           4
        .value_kind:     by_value
      - .offset:         8
        .size:           4
        .value_kind:     by_value
      - .actual_access:  read_only
        .address_space:  global
        .offset:         16
        .size:           8
        .value_kind:     global_buffer
      - .actual_access:  read_only
        .address_space:  global
        .offset:         24
        .size:           8
        .value_kind:     global_buffer
      - .actual_access:  read_only
        .address_space:  global
        .offset:         32
        .size:           8
        .value_kind:     global_buffer
      - .address_space:  global
        .offset:         40
        .size:           8
        .value_kind:     global_buffer
    .group_segment_fixed_size: 5120
    .kernarg_segment_align: 8
    .kernarg_segment_size: 48
    .language:       OpenCL C
    .language_version:
      - 2
      - 0
    .max_flat_workgroup_size: 128
    .name:           _ZN9rocsparseL44gtsv_nopivot_strided_batch_pcr_shared_kernelILj128E21rocsparse_complex_numIfEEEviiiPKT0_S5_S5_PS3_
    .private_segment_fixed_size: 0
    .sgpr_count:     18
    .sgpr_spill_count: 0
    .symbol:         _ZN9rocsparseL44gtsv_nopivot_strided_batch_pcr_shared_kernelILj128E21rocsparse_complex_numIfEEEviiiPKT0_S5_S5_PS3_.kd
    .uniform_work_group_size: 1
    .uses_dynamic_stack: false
    .vgpr_count:     39
    .vgpr_spill_count: 0
    .wavefront_size: 32
    .workgroup_processor_mode: 1
  - .args:
      - .offset:         0
        .size:           4
        .value_kind:     by_value
      - .offset:         4
        .size:           4
        .value_kind:     by_value
      - .offset:         8
        .size:           4
        .value_kind:     by_value
      - .actual_access:  read_only
        .address_space:  global
        .offset:         16
        .size:           8
        .value_kind:     global_buffer
      - .actual_access:  read_only
        .address_space:  global
        .offset:         24
        .size:           8
        .value_kind:     global_buffer
      - .actual_access:  read_only
        .address_space:  global
        .offset:         32
        .size:           8
        .value_kind:     global_buffer
      - .address_space:  global
        .offset:         40
        .size:           8
        .value_kind:     global_buffer
    .group_segment_fixed_size: 10240
    .kernarg_segment_align: 8
    .kernarg_segment_size: 48
    .language:       OpenCL C
    .language_version:
      - 2
      - 0
    .max_flat_workgroup_size: 256
    .name:           _ZN9rocsparseL44gtsv_nopivot_strided_batch_pcr_shared_kernelILj256E21rocsparse_complex_numIfEEEviiiPKT0_S5_S5_PS3_
    .private_segment_fixed_size: 0
    .sgpr_count:     18
    .sgpr_spill_count: 0
    .symbol:         _ZN9rocsparseL44gtsv_nopivot_strided_batch_pcr_shared_kernelILj256E21rocsparse_complex_numIfEEEviiiPKT0_S5_S5_PS3_.kd
    .uniform_work_group_size: 1
    .uses_dynamic_stack: false
    .vgpr_count:     39
    .vgpr_spill_count: 0
    .wavefront_size: 32
    .workgroup_processor_mode: 1
  - .args:
      - .offset:         0
        .size:           4
        .value_kind:     by_value
      - .offset:         4
        .size:           4
        .value_kind:     by_value
      - .offset:         8
        .size:           4
        .value_kind:     by_value
      - .actual_access:  read_only
        .address_space:  global
        .offset:         16
        .size:           8
        .value_kind:     global_buffer
      - .actual_access:  read_only
        .address_space:  global
        .offset:         24
        .size:           8
        .value_kind:     global_buffer
      - .actual_access:  read_only
        .address_space:  global
        .offset:         32
        .size:           8
        .value_kind:     global_buffer
      - .address_space:  global
        .offset:         40
        .size:           8
        .value_kind:     global_buffer
    .group_segment_fixed_size: 20480
    .kernarg_segment_align: 8
    .kernarg_segment_size: 48
    .language:       OpenCL C
    .language_version:
      - 2
      - 0
    .max_flat_workgroup_size: 512
    .name:           _ZN9rocsparseL44gtsv_nopivot_strided_batch_pcr_shared_kernelILj512E21rocsparse_complex_numIfEEEviiiPKT0_S5_S5_PS3_
    .private_segment_fixed_size: 0
    .sgpr_count:     18
    .sgpr_spill_count: 0
    .symbol:         _ZN9rocsparseL44gtsv_nopivot_strided_batch_pcr_shared_kernelILj512E21rocsparse_complex_numIfEEEviiiPKT0_S5_S5_PS3_.kd
    .uniform_work_group_size: 1
    .uses_dynamic_stack: false
    .vgpr_count:     39
    .vgpr_spill_count: 0
    .wavefront_size: 32
    .workgroup_processor_mode: 1
  - .args:
      - .offset:         0
        .size:           4
        .value_kind:     by_value
      - .offset:         4
        .size:           4
        .value_kind:     by_value
      - .offset:         8
        .size:           4
        .value_kind:     by_value
      - .offset:         12
        .size:           4
        .value_kind:     by_value
      - .actual_access:  read_only
        .address_space:  global
        .offset:         16
        .size:           8
        .value_kind:     global_buffer
      - .actual_access:  read_only
        .address_space:  global
        .offset:         24
        .size:           8
        .value_kind:     global_buffer
      - .actual_access:  read_only
        .address_space:  global
        .offset:         32
        .size:           8
        .value_kind:     global_buffer
      - .actual_access:  read_only
        .address_space:  global
        .offset:         40
        .size:           8
        .value_kind:     global_buffer
      - .actual_access:  write_only
        .address_space:  global
        .offset:         48
        .size:           8
        .value_kind:     global_buffer
      - .actual_access:  write_only
        .address_space:  global
        .offset:         56
        .size:           8
        .value_kind:     global_buffer
      - .actual_access:  write_only
        .address_space:  global
        .offset:         64
        .size:           8
        .value_kind:     global_buffer
      - .actual_access:  write_only
        .address_space:  global
        .offset:         72
        .size:           8
        .value_kind:     global_buffer
    .group_segment_fixed_size: 0
    .kernarg_segment_align: 8
    .kernarg_segment_size: 80
    .language:       OpenCL C
    .language_version:
      - 2
      - 0
    .max_flat_workgroup_size: 256
    .name:           _ZN9rocsparseL49gtsv_nopivot_strided_batch_pcr_pow2_stage1_kernelILj256E21rocsparse_complex_numIfEEEviiiiPKT0_S5_S5_S5_PS3_S6_S6_S6_
    .private_segment_fixed_size: 0
    .sgpr_count:     26
    .sgpr_spill_count: 0
    .symbol:         _ZN9rocsparseL49gtsv_nopivot_strided_batch_pcr_pow2_stage1_kernelILj256E21rocsparse_complex_numIfEEEviiiiPKT0_S5_S5_S5_PS3_S6_S6_S6_.kd
    .uniform_work_group_size: 1
    .uses_dynamic_stack: false
    .vgpr_count:     44
    .vgpr_spill_count: 0
    .wavefront_size: 32
    .workgroup_processor_mode: 1
  - .args:
      - .offset:         0
        .size:           4
        .value_kind:     by_value
      - .offset:         4
        .size:           4
        .value_kind:     by_value
      - .offset:         8
        .size:           4
        .value_kind:     by_value
      - .actual_access:  read_only
        .address_space:  global
        .offset:         16
        .size:           8
        .value_kind:     global_buffer
      - .actual_access:  read_only
        .address_space:  global
        .offset:         24
        .size:           8
        .value_kind:     global_buffer
      - .actual_access:  read_only
        .address_space:  global
        .offset:         32
        .size:           8
        .value_kind:     global_buffer
      - .actual_access:  read_only
        .address_space:  global
        .offset:         40
        .size:           8
        .value_kind:     global_buffer
      - .actual_access:  write_only
        .address_space:  global
        .offset:         48
        .size:           8
        .value_kind:     global_buffer
      - .offset:         56
        .size:           4
        .value_kind:     hidden_block_count_x
      - .offset:         60
        .size:           4
        .value_kind:     hidden_block_count_y
      - .offset:         64
        .size:           4
        .value_kind:     hidden_block_count_z
      - .offset:         68
        .size:           2
        .value_kind:     hidden_group_size_x
      - .offset:         70
        .size:           2
        .value_kind:     hidden_group_size_y
      - .offset:         72
        .size:           2
        .value_kind:     hidden_group_size_z
      - .offset:         74
        .size:           2
        .value_kind:     hidden_remainder_x
      - .offset:         76
        .size:           2
        .value_kind:     hidden_remainder_y
      - .offset:         78
        .size:           2
        .value_kind:     hidden_remainder_z
      - .offset:         96
        .size:           8
        .value_kind:     hidden_global_offset_x
      - .offset:         104
        .size:           8
        .value_kind:     hidden_global_offset_y
      - .offset:         112
        .size:           8
        .value_kind:     hidden_global_offset_z
      - .offset:         120
        .size:           2
        .value_kind:     hidden_grid_dims
    .group_segment_fixed_size: 20480
    .kernarg_segment_align: 8
    .kernarg_segment_size: 312
    .language:       OpenCL C
    .language_version:
      - 2
      - 0
    .max_flat_workgroup_size: 256
    .name:           _ZN9rocsparseL48gtsv_nopivot_strided_batch_cr_pow2_stage2_kernelILj256E21rocsparse_complex_numIfEEEviiiPKT0_S5_S5_S5_PS3_
    .private_segment_fixed_size: 0
    .sgpr_count:     18
    .sgpr_spill_count: 0
    .symbol:         _ZN9rocsparseL48gtsv_nopivot_strided_batch_cr_pow2_stage2_kernelILj256E21rocsparse_complex_numIfEEEviiiPKT0_S5_S5_S5_PS3_.kd
    .uniform_work_group_size: 1
    .uses_dynamic_stack: false
    .vgpr_count:     44
    .vgpr_spill_count: 0
    .wavefront_size: 32
    .workgroup_processor_mode: 1
  - .args:
      - .offset:         0
        .size:           4
        .value_kind:     by_value
      - .offset:         4
        .size:           4
        .value_kind:     by_value
      - .offset:         8
        .size:           4
        .value_kind:     by_value
      - .offset:         12
        .size:           4
        .value_kind:     by_value
      - .actual_access:  read_only
        .address_space:  global
        .offset:         16
        .size:           8
        .value_kind:     global_buffer
      - .actual_access:  read_only
        .address_space:  global
        .offset:         24
        .size:           8
        .value_kind:     global_buffer
      - .actual_access:  read_only
        .address_space:  global
        .offset:         32
        .size:           8
        .value_kind:     global_buffer
      - .actual_access:  read_only
        .address_space:  global
        .offset:         40
        .size:           8
        .value_kind:     global_buffer
      - .actual_access:  write_only
        .address_space:  global
        .offset:         48
        .size:           8
        .value_kind:     global_buffer
      - .actual_access:  write_only
        .address_space:  global
        .offset:         56
        .size:           8
        .value_kind:     global_buffer
      - .actual_access:  write_only
        .address_space:  global
        .offset:         64
        .size:           8
        .value_kind:     global_buffer
      - .actual_access:  write_only
        .address_space:  global
        .offset:         72
        .size:           8
        .value_kind:     global_buffer
    .group_segment_fixed_size: 0
    .kernarg_segment_align: 8
    .kernarg_segment_size: 80
    .language:       OpenCL C
    .language_version:
      - 2
      - 0
    .max_flat_workgroup_size: 256
    .name:           _ZN9rocsparseL44gtsv_nopivot_strided_batch_pcr_stage1_kernelILj256E21rocsparse_complex_numIfEEEviiiiPKT0_S5_S5_S5_PS3_S6_S6_S6_
    .private_segment_fixed_size: 0
    .sgpr_count:     26
    .sgpr_spill_count: 0
    .symbol:         _ZN9rocsparseL44gtsv_nopivot_strided_batch_pcr_stage1_kernelILj256E21rocsparse_complex_numIfEEEviiiiPKT0_S5_S5_S5_PS3_S6_S6_S6_.kd
    .uniform_work_group_size: 1
    .uses_dynamic_stack: false
    .vgpr_count:     42
    .vgpr_spill_count: 0
    .wavefront_size: 32
    .workgroup_processor_mode: 1
  - .args:
      - .offset:         0
        .size:           4
        .value_kind:     by_value
      - .offset:         4
        .size:           4
        .value_kind:     by_value
      - .offset:         8
        .size:           4
        .value_kind:     by_value
      - .actual_access:  read_only
        .address_space:  global
        .offset:         16
        .size:           8
        .value_kind:     global_buffer
      - .actual_access:  read_only
        .address_space:  global
        .offset:         24
        .size:           8
        .value_kind:     global_buffer
      - .actual_access:  read_only
        .address_space:  global
        .offset:         32
        .size:           8
        .value_kind:     global_buffer
      - .actual_access:  read_only
        .address_space:  global
        .offset:         40
        .size:           8
        .value_kind:     global_buffer
      - .actual_access:  write_only
        .address_space:  global
        .offset:         48
        .size:           8
        .value_kind:     global_buffer
      - .offset:         56
        .size:           4
        .value_kind:     hidden_block_count_x
      - .offset:         60
        .size:           4
        .value_kind:     hidden_block_count_y
      - .offset:         64
        .size:           4
        .value_kind:     hidden_block_count_z
      - .offset:         68
        .size:           2
        .value_kind:     hidden_group_size_x
      - .offset:         70
        .size:           2
        .value_kind:     hidden_group_size_y
      - .offset:         72
        .size:           2
        .value_kind:     hidden_group_size_z
      - .offset:         74
        .size:           2
        .value_kind:     hidden_remainder_x
      - .offset:         76
        .size:           2
        .value_kind:     hidden_remainder_y
      - .offset:         78
        .size:           2
        .value_kind:     hidden_remainder_z
      - .offset:         96
        .size:           8
        .value_kind:     hidden_global_offset_x
      - .offset:         104
        .size:           8
        .value_kind:     hidden_global_offset_y
      - .offset:         112
        .size:           8
        .value_kind:     hidden_global_offset_z
      - .offset:         120
        .size:           2
        .value_kind:     hidden_grid_dims
    .group_segment_fixed_size: 20480
    .kernarg_segment_align: 8
    .kernarg_segment_size: 312
    .language:       OpenCL C
    .language_version:
      - 2
      - 0
    .max_flat_workgroup_size: 512
    .name:           _ZN9rocsparseL44gtsv_nopivot_strided_batch_pcr_stage2_kernelILj512E21rocsparse_complex_numIfEEEviiiPKT0_S5_S5_S5_PS3_
    .private_segment_fixed_size: 0
    .sgpr_count:     18
    .sgpr_spill_count: 0
    .symbol:         _ZN9rocsparseL44gtsv_nopivot_strided_batch_pcr_stage2_kernelILj512E21rocsparse_complex_numIfEEEviiiPKT0_S5_S5_S5_PS3_.kd
    .uniform_work_group_size: 1
    .uses_dynamic_stack: false
    .vgpr_count:     38
    .vgpr_spill_count: 0
    .wavefront_size: 32
    .workgroup_processor_mode: 1
  - .args:
      - .offset:         0
        .size:           4
        .value_kind:     by_value
      - .offset:         4
        .size:           4
        .value_kind:     by_value
      - .offset:         8
        .size:           4
        .value_kind:     by_value
      - .actual_access:  read_only
        .address_space:  global
        .offset:         16
        .size:           8
        .value_kind:     global_buffer
      - .actual_access:  read_only
        .address_space:  global
        .offset:         24
        .size:           8
        .value_kind:     global_buffer
      - .actual_access:  read_only
        .address_space:  global
        .offset:         32
        .size:           8
        .value_kind:     global_buffer
      - .address_space:  global
        .offset:         40
        .size:           8
        .value_kind:     global_buffer
    .group_segment_fixed_size: 240
    .kernarg_segment_align: 8
    .kernarg_segment_size: 48
    .language:       OpenCL C
    .language_version:
      - 2
      - 0
    .max_flat_workgroup_size: 2
    .name:           _ZN9rocsparseL49gtsv_nopivot_strided_batch_pcr_pow2_shared_kernelILj2E21rocsparse_complex_numIdEEEviiiPKT0_S5_S5_PS3_
    .private_segment_fixed_size: 0
    .sgpr_count:     18
    .sgpr_spill_count: 0
    .symbol:         _ZN9rocsparseL49gtsv_nopivot_strided_batch_pcr_pow2_shared_kernelILj2E21rocsparse_complex_numIdEEEviiiPKT0_S5_S5_PS3_.kd
    .uniform_work_group_size: 1
    .uses_dynamic_stack: false
    .vgpr_count:     50
    .vgpr_spill_count: 0
    .wavefront_size: 32
    .workgroup_processor_mode: 1
  - .args:
      - .offset:         0
        .size:           4
        .value_kind:     by_value
      - .offset:         4
        .size:           4
        .value_kind:     by_value
      - .offset:         8
        .size:           4
        .value_kind:     by_value
      - .actual_access:  read_only
        .address_space:  global
        .offset:         16
        .size:           8
        .value_kind:     global_buffer
      - .actual_access:  read_only
        .address_space:  global
        .offset:         24
        .size:           8
        .value_kind:     global_buffer
      - .actual_access:  read_only
        .address_space:  global
        .offset:         32
        .size:           8
        .value_kind:     global_buffer
      - .address_space:  global
        .offset:         40
        .size:           8
        .value_kind:     global_buffer
    .group_segment_fixed_size: 400
    .kernarg_segment_align: 8
    .kernarg_segment_size: 48
    .language:       OpenCL C
    .language_version:
      - 2
      - 0
    .max_flat_workgroup_size: 4
    .name:           _ZN9rocsparseL49gtsv_nopivot_strided_batch_pcr_pow2_shared_kernelILj4E21rocsparse_complex_numIdEEEviiiPKT0_S5_S5_PS3_
    .private_segment_fixed_size: 0
    .sgpr_count:     18
    .sgpr_spill_count: 0
    .symbol:         _ZN9rocsparseL49gtsv_nopivot_strided_batch_pcr_pow2_shared_kernelILj4E21rocsparse_complex_numIdEEEviiiPKT0_S5_S5_PS3_.kd
    .uniform_work_group_size: 1
    .uses_dynamic_stack: false
    .vgpr_count:     60
    .vgpr_spill_count: 0
    .wavefront_size: 32
    .workgroup_processor_mode: 1
  - .args:
      - .offset:         0
        .size:           4
        .value_kind:     by_value
      - .offset:         4
        .size:           4
        .value_kind:     by_value
      - .offset:         8
        .size:           4
        .value_kind:     by_value
      - .actual_access:  read_only
        .address_space:  global
        .offset:         16
        .size:           8
        .value_kind:     global_buffer
      - .actual_access:  read_only
        .address_space:  global
        .offset:         24
        .size:           8
        .value_kind:     global_buffer
      - .actual_access:  read_only
        .address_space:  global
        .offset:         32
        .size:           8
        .value_kind:     global_buffer
      - .address_space:  global
        .offset:         40
        .size:           8
        .value_kind:     global_buffer
    .group_segment_fixed_size: 720
    .kernarg_segment_align: 8
    .kernarg_segment_size: 48
    .language:       OpenCL C
    .language_version:
      - 2
      - 0
    .max_flat_workgroup_size: 8
    .name:           _ZN9rocsparseL49gtsv_nopivot_strided_batch_pcr_pow2_shared_kernelILj8E21rocsparse_complex_numIdEEEviiiPKT0_S5_S5_PS3_
    .private_segment_fixed_size: 0
    .sgpr_count:     18
    .sgpr_spill_count: 0
    .symbol:         _ZN9rocsparseL49gtsv_nopivot_strided_batch_pcr_pow2_shared_kernelILj8E21rocsparse_complex_numIdEEEviiiPKT0_S5_S5_PS3_.kd
    .uniform_work_group_size: 1
    .uses_dynamic_stack: false
    .vgpr_count:     60
    .vgpr_spill_count: 0
    .wavefront_size: 32
    .workgroup_processor_mode: 1
  - .args:
      - .offset:         0
        .size:           4
        .value_kind:     by_value
      - .offset:         4
        .size:           4
        .value_kind:     by_value
      - .offset:         8
        .size:           4
        .value_kind:     by_value
      - .actual_access:  read_only
        .address_space:  global
        .offset:         16
        .size:           8
        .value_kind:     global_buffer
      - .actual_access:  read_only
        .address_space:  global
        .offset:         24
        .size:           8
        .value_kind:     global_buffer
      - .actual_access:  read_only
        .address_space:  global
        .offset:         32
        .size:           8
        .value_kind:     global_buffer
      - .address_space:  global
        .offset:         40
        .size:           8
        .value_kind:     global_buffer
    .group_segment_fixed_size: 1360
    .kernarg_segment_align: 8
    .kernarg_segment_size: 48
    .language:       OpenCL C
    .language_version:
      - 2
      - 0
    .max_flat_workgroup_size: 16
    .name:           _ZN9rocsparseL49gtsv_nopivot_strided_batch_pcr_pow2_shared_kernelILj16E21rocsparse_complex_numIdEEEviiiPKT0_S5_S5_PS3_
    .private_segment_fixed_size: 0
    .sgpr_count:     18
    .sgpr_spill_count: 0
    .symbol:         _ZN9rocsparseL49gtsv_nopivot_strided_batch_pcr_pow2_shared_kernelILj16E21rocsparse_complex_numIdEEEviiiPKT0_S5_S5_PS3_.kd
    .uniform_work_group_size: 1
    .uses_dynamic_stack: false
    .vgpr_count:     60
    .vgpr_spill_count: 0
    .wavefront_size: 32
    .workgroup_processor_mode: 1
  - .args:
      - .offset:         0
        .size:           4
        .value_kind:     by_value
      - .offset:         4
        .size:           4
        .value_kind:     by_value
      - .offset:         8
        .size:           4
        .value_kind:     by_value
      - .actual_access:  read_only
        .address_space:  global
        .offset:         16
        .size:           8
        .value_kind:     global_buffer
      - .actual_access:  read_only
        .address_space:  global
        .offset:         24
        .size:           8
        .value_kind:     global_buffer
      - .actual_access:  read_only
        .address_space:  global
        .offset:         32
        .size:           8
        .value_kind:     global_buffer
      - .address_space:  global
        .offset:         40
        .size:           8
        .value_kind:     global_buffer
    .group_segment_fixed_size: 2640
    .kernarg_segment_align: 8
    .kernarg_segment_size: 48
    .language:       OpenCL C
    .language_version:
      - 2
      - 0
    .max_flat_workgroup_size: 32
    .name:           _ZN9rocsparseL49gtsv_nopivot_strided_batch_pcr_pow2_shared_kernelILj32E21rocsparse_complex_numIdEEEviiiPKT0_S5_S5_PS3_
    .private_segment_fixed_size: 0
    .sgpr_count:     18
    .sgpr_spill_count: 0
    .symbol:         _ZN9rocsparseL49gtsv_nopivot_strided_batch_pcr_pow2_shared_kernelILj32E21rocsparse_complex_numIdEEEviiiPKT0_S5_S5_PS3_.kd
    .uniform_work_group_size: 1
    .uses_dynamic_stack: false
    .vgpr_count:     61
    .vgpr_spill_count: 0
    .wavefront_size: 32
    .workgroup_processor_mode: 1
  - .args:
      - .offset:         0
        .size:           4
        .value_kind:     by_value
      - .offset:         4
        .size:           4
        .value_kind:     by_value
      - .offset:         8
        .size:           4
        .value_kind:     by_value
      - .actual_access:  read_only
        .address_space:  global
        .offset:         16
        .size:           8
        .value_kind:     global_buffer
      - .actual_access:  read_only
        .address_space:  global
        .offset:         24
        .size:           8
        .value_kind:     global_buffer
      - .actual_access:  read_only
        .address_space:  global
        .offset:         32
        .size:           8
        .value_kind:     global_buffer
      - .address_space:  global
        .offset:         40
        .size:           8
        .value_kind:     global_buffer
    .group_segment_fixed_size: 5200
    .kernarg_segment_align: 8
    .kernarg_segment_size: 48
    .language:       OpenCL C
    .language_version:
      - 2
      - 0
    .max_flat_workgroup_size: 64
    .name:           _ZN9rocsparseL49gtsv_nopivot_strided_batch_pcr_pow2_shared_kernelILj64E21rocsparse_complex_numIdEEEviiiPKT0_S5_S5_PS3_
    .private_segment_fixed_size: 0
    .sgpr_count:     18
    .sgpr_spill_count: 0
    .symbol:         _ZN9rocsparseL49gtsv_nopivot_strided_batch_pcr_pow2_shared_kernelILj64E21rocsparse_complex_numIdEEEviiiPKT0_S5_S5_PS3_.kd
    .uniform_work_group_size: 1
    .uses_dynamic_stack: false
    .vgpr_count:     62
    .vgpr_spill_count: 0
    .wavefront_size: 32
    .workgroup_processor_mode: 1
  - .args:
      - .offset:         0
        .size:           4
        .value_kind:     by_value
      - .offset:         4
        .size:           4
        .value_kind:     by_value
      - .offset:         8
        .size:           4
        .value_kind:     by_value
      - .actual_access:  read_only
        .address_space:  global
        .offset:         16
        .size:           8
        .value_kind:     global_buffer
      - .actual_access:  read_only
        .address_space:  global
        .offset:         24
        .size:           8
        .value_kind:     global_buffer
      - .actual_access:  read_only
        .address_space:  global
        .offset:         32
        .size:           8
        .value_kind:     global_buffer
      - .address_space:  global
        .offset:         40
        .size:           8
        .value_kind:     global_buffer
    .group_segment_fixed_size: 15360
    .kernarg_segment_align: 8
    .kernarg_segment_size: 48
    .language:       OpenCL C
    .language_version:
      - 2
      - 0
    .max_flat_workgroup_size: 64
    .name:           _ZN9rocsparseL51gtsv_nopivot_strided_batch_crpcr_pow2_shared_kernelILj64ELj64E21rocsparse_complex_numIdEEEviiiPKT1_S5_S5_PS3_
    .private_segment_fixed_size: 0
    .sgpr_count:     18
    .sgpr_spill_count: 0
    .symbol:         _ZN9rocsparseL51gtsv_nopivot_strided_batch_crpcr_pow2_shared_kernelILj64ELj64E21rocsparse_complex_numIdEEEviiiPKT1_S5_S5_PS3_.kd
    .uniform_work_group_size: 1
    .uses_dynamic_stack: false
    .vgpr_count:     64
    .vgpr_spill_count: 0
    .wavefront_size: 32
    .workgroup_processor_mode: 1
  - .args:
      - .offset:         0
        .size:           4
        .value_kind:     by_value
      - .offset:         4
        .size:           4
        .value_kind:     by_value
      - .offset:         8
        .size:           4
        .value_kind:     by_value
      - .actual_access:  read_only
        .address_space:  global
        .offset:         16
        .size:           8
        .value_kind:     global_buffer
      - .actual_access:  read_only
        .address_space:  global
        .offset:         24
        .size:           8
        .value_kind:     global_buffer
      - .actual_access:  read_only
        .address_space:  global
        .offset:         32
        .size:           8
        .value_kind:     global_buffer
      - .address_space:  global
        .offset:         40
        .size:           8
        .value_kind:     global_buffer
    .group_segment_fixed_size: 25600
    .kernarg_segment_align: 8
    .kernarg_segment_size: 48
    .language:       OpenCL C
    .language_version:
      - 2
      - 0
    .max_flat_workgroup_size: 128
    .name:           _ZN9rocsparseL51gtsv_nopivot_strided_batch_crpcr_pow2_shared_kernelILj128ELj64E21rocsparse_complex_numIdEEEviiiPKT1_S5_S5_PS3_
    .private_segment_fixed_size: 0
    .sgpr_count:     18
    .sgpr_spill_count: 0
    .symbol:         _ZN9rocsparseL51gtsv_nopivot_strided_batch_crpcr_pow2_shared_kernelILj128ELj64E21rocsparse_complex_numIdEEEviiiPKT1_S5_S5_PS3_.kd
    .uniform_work_group_size: 1
    .uses_dynamic_stack: false
    .vgpr_count:     66
    .vgpr_spill_count: 0
    .wavefront_size: 32
    .workgroup_processor_mode: 1
  - .args:
      - .offset:         0
        .size:           4
        .value_kind:     by_value
      - .offset:         4
        .size:           4
        .value_kind:     by_value
      - .offset:         8
        .size:           4
        .value_kind:     by_value
      - .actual_access:  read_only
        .address_space:  global
        .offset:         16
        .size:           8
        .value_kind:     global_buffer
      - .actual_access:  read_only
        .address_space:  global
        .offset:         24
        .size:           8
        .value_kind:     global_buffer
      - .actual_access:  read_only
        .address_space:  global
        .offset:         32
        .size:           8
        .value_kind:     global_buffer
      - .address_space:  global
        .offset:         40
        .size:           8
        .value_kind:     global_buffer
    .group_segment_fixed_size: 46080
    .kernarg_segment_align: 8
    .kernarg_segment_size: 48
    .language:       OpenCL C
    .language_version:
      - 2
      - 0
    .max_flat_workgroup_size: 256
    .name:           _ZN9rocsparseL51gtsv_nopivot_strided_batch_crpcr_pow2_shared_kernelILj256ELj64E21rocsparse_complex_numIdEEEviiiPKT1_S5_S5_PS3_
    .private_segment_fixed_size: 0
    .sgpr_count:     18
    .sgpr_spill_count: 0
    .symbol:         _ZN9rocsparseL51gtsv_nopivot_strided_batch_crpcr_pow2_shared_kernelILj256ELj64E21rocsparse_complex_numIdEEEviiiPKT1_S5_S5_PS3_.kd
    .uniform_work_group_size: 1
    .uses_dynamic_stack: false
    .vgpr_count:     66
    .vgpr_spill_count: 0
    .wavefront_size: 32
    .workgroup_processor_mode: 1
  - .args:
      - .offset:         0
        .size:           4
        .value_kind:     by_value
      - .offset:         4
        .size:           4
        .value_kind:     by_value
      - .offset:         8
        .size:           4
        .value_kind:     by_value
      - .actual_access:  read_only
        .address_space:  global
        .offset:         16
        .size:           8
        .value_kind:     global_buffer
      - .actual_access:  read_only
        .address_space:  global
        .offset:         24
        .size:           8
        .value_kind:     global_buffer
      - .actual_access:  read_only
        .address_space:  global
        .offset:         32
        .size:           8
        .value_kind:     global_buffer
      - .address_space:  global
        .offset:         40
        .size:           8
        .value_kind:     global_buffer
    .group_segment_fixed_size: 320
    .kernarg_segment_align: 8
    .kernarg_segment_size: 48
    .language:       OpenCL C
    .language_version:
      - 2
      - 0
    .max_flat_workgroup_size: 4
    .name:           _ZN9rocsparseL44gtsv_nopivot_strided_batch_pcr_shared_kernelILj4E21rocsparse_complex_numIdEEEviiiPKT0_S5_S5_PS3_
    .private_segment_fixed_size: 0
    .sgpr_count:     18
    .sgpr_spill_count: 0
    .symbol:         _ZN9rocsparseL44gtsv_nopivot_strided_batch_pcr_shared_kernelILj4E21rocsparse_complex_numIdEEEviiiPKT0_S5_S5_PS3_.kd
    .uniform_work_group_size: 1
    .uses_dynamic_stack: false
    .vgpr_count:     62
    .vgpr_spill_count: 0
    .wavefront_size: 32
    .workgroup_processor_mode: 1
  - .args:
      - .offset:         0
        .size:           4
        .value_kind:     by_value
      - .offset:         4
        .size:           4
        .value_kind:     by_value
      - .offset:         8
        .size:           4
        .value_kind:     by_value
      - .actual_access:  read_only
        .address_space:  global
        .offset:         16
        .size:           8
        .value_kind:     global_buffer
      - .actual_access:  read_only
        .address_space:  global
        .offset:         24
        .size:           8
        .value_kind:     global_buffer
      - .actual_access:  read_only
        .address_space:  global
        .offset:         32
        .size:           8
        .value_kind:     global_buffer
      - .address_space:  global
        .offset:         40
        .size:           8
        .value_kind:     global_buffer
    .group_segment_fixed_size: 640
    .kernarg_segment_align: 8
    .kernarg_segment_size: 48
    .language:       OpenCL C
    .language_version:
      - 2
      - 0
    .max_flat_workgroup_size: 8
    .name:           _ZN9rocsparseL44gtsv_nopivot_strided_batch_pcr_shared_kernelILj8E21rocsparse_complex_numIdEEEviiiPKT0_S5_S5_PS3_
    .private_segment_fixed_size: 0
    .sgpr_count:     18
    .sgpr_spill_count: 0
    .symbol:         _ZN9rocsparseL44gtsv_nopivot_strided_batch_pcr_shared_kernelILj8E21rocsparse_complex_numIdEEEviiiPKT0_S5_S5_PS3_.kd
    .uniform_work_group_size: 1
    .uses_dynamic_stack: false
    .vgpr_count:     62
    .vgpr_spill_count: 0
    .wavefront_size: 32
    .workgroup_processor_mode: 1
  - .args:
      - .offset:         0
        .size:           4
        .value_kind:     by_value
      - .offset:         4
        .size:           4
        .value_kind:     by_value
      - .offset:         8
        .size:           4
        .value_kind:     by_value
      - .actual_access:  read_only
        .address_space:  global
        .offset:         16
        .size:           8
        .value_kind:     global_buffer
      - .actual_access:  read_only
        .address_space:  global
        .offset:         24
        .size:           8
        .value_kind:     global_buffer
      - .actual_access:  read_only
        .address_space:  global
        .offset:         32
        .size:           8
        .value_kind:     global_buffer
      - .address_space:  global
        .offset:         40
        .size:           8
        .value_kind:     global_buffer
    .group_segment_fixed_size: 1280
    .kernarg_segment_align: 8
    .kernarg_segment_size: 48
    .language:       OpenCL C
    .language_version:
      - 2
      - 0
    .max_flat_workgroup_size: 16
    .name:           _ZN9rocsparseL44gtsv_nopivot_strided_batch_pcr_shared_kernelILj16E21rocsparse_complex_numIdEEEviiiPKT0_S5_S5_PS3_
    .private_segment_fixed_size: 0
    .sgpr_count:     18
    .sgpr_spill_count: 0
    .symbol:         _ZN9rocsparseL44gtsv_nopivot_strided_batch_pcr_shared_kernelILj16E21rocsparse_complex_numIdEEEviiiPKT0_S5_S5_PS3_.kd
    .uniform_work_group_size: 1
    .uses_dynamic_stack: false
    .vgpr_count:     62
    .vgpr_spill_count: 0
    .wavefront_size: 32
    .workgroup_processor_mode: 1
  - .args:
      - .offset:         0
        .size:           4
        .value_kind:     by_value
      - .offset:         4
        .size:           4
        .value_kind:     by_value
      - .offset:         8
        .size:           4
        .value_kind:     by_value
      - .actual_access:  read_only
        .address_space:  global
        .offset:         16
        .size:           8
        .value_kind:     global_buffer
      - .actual_access:  read_only
        .address_space:  global
        .offset:         24
        .size:           8
        .value_kind:     global_buffer
      - .actual_access:  read_only
        .address_space:  global
        .offset:         32
        .size:           8
        .value_kind:     global_buffer
      - .address_space:  global
        .offset:         40
        .size:           8
        .value_kind:     global_buffer
    .group_segment_fixed_size: 2560
    .kernarg_segment_align: 8
    .kernarg_segment_size: 48
    .language:       OpenCL C
    .language_version:
      - 2
      - 0
    .max_flat_workgroup_size: 32
    .name:           _ZN9rocsparseL44gtsv_nopivot_strided_batch_pcr_shared_kernelILj32E21rocsparse_complex_numIdEEEviiiPKT0_S5_S5_PS3_
    .private_segment_fixed_size: 0
    .sgpr_count:     18
    .sgpr_spill_count: 0
    .symbol:         _ZN9rocsparseL44gtsv_nopivot_strided_batch_pcr_shared_kernelILj32E21rocsparse_complex_numIdEEEviiiPKT0_S5_S5_PS3_.kd
    .uniform_work_group_size: 1
    .uses_dynamic_stack: false
    .vgpr_count:     62
    .vgpr_spill_count: 0
    .wavefront_size: 32
    .workgroup_processor_mode: 1
  - .args:
      - .offset:         0
        .size:           4
        .value_kind:     by_value
      - .offset:         4
        .size:           4
        .value_kind:     by_value
      - .offset:         8
        .size:           4
        .value_kind:     by_value
      - .actual_access:  read_only
        .address_space:  global
        .offset:         16
        .size:           8
        .value_kind:     global_buffer
      - .actual_access:  read_only
        .address_space:  global
        .offset:         24
        .size:           8
        .value_kind:     global_buffer
      - .actual_access:  read_only
        .address_space:  global
        .offset:         32
        .size:           8
        .value_kind:     global_buffer
      - .address_space:  global
        .offset:         40
        .size:           8
        .value_kind:     global_buffer
    .group_segment_fixed_size: 5120
    .kernarg_segment_align: 8
    .kernarg_segment_size: 48
    .language:       OpenCL C
    .language_version:
      - 2
      - 0
    .max_flat_workgroup_size: 64
    .name:           _ZN9rocsparseL44gtsv_nopivot_strided_batch_pcr_shared_kernelILj64E21rocsparse_complex_numIdEEEviiiPKT0_S5_S5_PS3_
    .private_segment_fixed_size: 0
    .sgpr_count:     18
    .sgpr_spill_count: 0
    .symbol:         _ZN9rocsparseL44gtsv_nopivot_strided_batch_pcr_shared_kernelILj64E21rocsparse_complex_numIdEEEviiiPKT0_S5_S5_PS3_.kd
    .uniform_work_group_size: 1
    .uses_dynamic_stack: false
    .vgpr_count:     62
    .vgpr_spill_count: 0
    .wavefront_size: 32
    .workgroup_processor_mode: 1
  - .args:
      - .offset:         0
        .size:           4
        .value_kind:     by_value
      - .offset:         4
        .size:           4
        .value_kind:     by_value
      - .offset:         8
        .size:           4
        .value_kind:     by_value
      - .actual_access:  read_only
        .address_space:  global
        .offset:         16
        .size:           8
        .value_kind:     global_buffer
      - .actual_access:  read_only
        .address_space:  global
        .offset:         24
        .size:           8
        .value_kind:     global_buffer
      - .actual_access:  read_only
        .address_space:  global
        .offset:         32
        .size:           8
        .value_kind:     global_buffer
      - .address_space:  global
        .offset:         40
        .size:           8
        .value_kind:     global_buffer
    .group_segment_fixed_size: 10240
    .kernarg_segment_align: 8
    .kernarg_segment_size: 48
    .language:       OpenCL C
    .language_version:
      - 2
      - 0
    .max_flat_workgroup_size: 128
    .name:           _ZN9rocsparseL44gtsv_nopivot_strided_batch_pcr_shared_kernelILj128E21rocsparse_complex_numIdEEEviiiPKT0_S5_S5_PS3_
    .private_segment_fixed_size: 0
    .sgpr_count:     18
    .sgpr_spill_count: 0
    .symbol:         _ZN9rocsparseL44gtsv_nopivot_strided_batch_pcr_shared_kernelILj128E21rocsparse_complex_numIdEEEviiiPKT0_S5_S5_PS3_.kd
    .uniform_work_group_size: 1
    .uses_dynamic_stack: false
    .vgpr_count:     64
    .vgpr_spill_count: 0
    .wavefront_size: 32
    .workgroup_processor_mode: 1
  - .args:
      - .offset:         0
        .size:           4
        .value_kind:     by_value
      - .offset:         4
        .size:           4
        .value_kind:     by_value
      - .offset:         8
        .size:           4
        .value_kind:     by_value
      - .actual_access:  read_only
        .address_space:  global
        .offset:         16
        .size:           8
        .value_kind:     global_buffer
      - .actual_access:  read_only
        .address_space:  global
        .offset:         24
        .size:           8
        .value_kind:     global_buffer
      - .actual_access:  read_only
        .address_space:  global
        .offset:         32
        .size:           8
        .value_kind:     global_buffer
      - .address_space:  global
        .offset:         40
        .size:           8
        .value_kind:     global_buffer
    .group_segment_fixed_size: 20480
    .kernarg_segment_align: 8
    .kernarg_segment_size: 48
    .language:       OpenCL C
    .language_version:
      - 2
      - 0
    .max_flat_workgroup_size: 256
    .name:           _ZN9rocsparseL44gtsv_nopivot_strided_batch_pcr_shared_kernelILj256E21rocsparse_complex_numIdEEEviiiPKT0_S5_S5_PS3_
    .private_segment_fixed_size: 0
    .sgpr_count:     18
    .sgpr_spill_count: 0
    .symbol:         _ZN9rocsparseL44gtsv_nopivot_strided_batch_pcr_shared_kernelILj256E21rocsparse_complex_numIdEEEviiiPKT0_S5_S5_PS3_.kd
    .uniform_work_group_size: 1
    .uses_dynamic_stack: false
    .vgpr_count:     64
    .vgpr_spill_count: 0
    .wavefront_size: 32
    .workgroup_processor_mode: 1
  - .args:
      - .offset:         0
        .size:           4
        .value_kind:     by_value
      - .offset:         4
        .size:           4
        .value_kind:     by_value
      - .offset:         8
        .size:           4
        .value_kind:     by_value
      - .actual_access:  read_only
        .address_space:  global
        .offset:         16
        .size:           8
        .value_kind:     global_buffer
      - .actual_access:  read_only
        .address_space:  global
        .offset:         24
        .size:           8
        .value_kind:     global_buffer
      - .actual_access:  read_only
        .address_space:  global
        .offset:         32
        .size:           8
        .value_kind:     global_buffer
      - .address_space:  global
        .offset:         40
        .size:           8
        .value_kind:     global_buffer
    .group_segment_fixed_size: 40960
    .kernarg_segment_align: 8
    .kernarg_segment_size: 48
    .language:       OpenCL C
    .language_version:
      - 2
      - 0
    .max_flat_workgroup_size: 512
    .name:           _ZN9rocsparseL44gtsv_nopivot_strided_batch_pcr_shared_kernelILj512E21rocsparse_complex_numIdEEEviiiPKT0_S5_S5_PS3_
    .private_segment_fixed_size: 0
    .sgpr_count:     18
    .sgpr_spill_count: 0
    .symbol:         _ZN9rocsparseL44gtsv_nopivot_strided_batch_pcr_shared_kernelILj512E21rocsparse_complex_numIdEEEviiiPKT0_S5_S5_PS3_.kd
    .uniform_work_group_size: 1
    .uses_dynamic_stack: false
    .vgpr_count:     64
    .vgpr_spill_count: 0
    .wavefront_size: 32
    .workgroup_processor_mode: 1
  - .args:
      - .offset:         0
        .size:           4
        .value_kind:     by_value
      - .offset:         4
        .size:           4
        .value_kind:     by_value
      - .offset:         8
        .size:           4
        .value_kind:     by_value
      - .offset:         12
        .size:           4
        .value_kind:     by_value
      - .actual_access:  read_only
        .address_space:  global
        .offset:         16
        .size:           8
        .value_kind:     global_buffer
      - .actual_access:  read_only
        .address_space:  global
        .offset:         24
        .size:           8
        .value_kind:     global_buffer
      - .actual_access:  read_only
        .address_space:  global
        .offset:         32
        .size:           8
        .value_kind:     global_buffer
      - .actual_access:  read_only
        .address_space:  global
        .offset:         40
        .size:           8
        .value_kind:     global_buffer
      - .actual_access:  write_only
        .address_space:  global
        .offset:         48
        .size:           8
        .value_kind:     global_buffer
      - .actual_access:  write_only
        .address_space:  global
        .offset:         56
        .size:           8
        .value_kind:     global_buffer
      - .actual_access:  write_only
        .address_space:  global
        .offset:         64
        .size:           8
        .value_kind:     global_buffer
      - .actual_access:  write_only
        .address_space:  global
        .offset:         72
        .size:           8
        .value_kind:     global_buffer
    .group_segment_fixed_size: 0
    .kernarg_segment_align: 8
    .kernarg_segment_size: 80
    .language:       OpenCL C
    .language_version:
      - 2
      - 0
    .max_flat_workgroup_size: 256
    .name:           _ZN9rocsparseL49gtsv_nopivot_strided_batch_pcr_pow2_stage1_kernelILj256E21rocsparse_complex_numIdEEEviiiiPKT0_S5_S5_S5_PS3_S6_S6_S6_
    .private_segment_fixed_size: 0
    .sgpr_count:     31
    .sgpr_spill_count: 0
    .symbol:         _ZN9rocsparseL49gtsv_nopivot_strided_batch_pcr_pow2_stage1_kernelILj256E21rocsparse_complex_numIdEEEviiiiPKT0_S5_S5_S5_PS3_S6_S6_S6_.kd
    .uniform_work_group_size: 1
    .uses_dynamic_stack: false
    .vgpr_count:     70
    .vgpr_spill_count: 0
    .wavefront_size: 32
    .workgroup_processor_mode: 1
  - .args:
      - .offset:         0
        .size:           4
        .value_kind:     by_value
      - .offset:         4
        .size:           4
        .value_kind:     by_value
      - .offset:         8
        .size:           4
        .value_kind:     by_value
      - .actual_access:  read_only
        .address_space:  global
        .offset:         16
        .size:           8
        .value_kind:     global_buffer
      - .actual_access:  read_only
        .address_space:  global
        .offset:         24
        .size:           8
        .value_kind:     global_buffer
      - .actual_access:  read_only
        .address_space:  global
        .offset:         32
        .size:           8
        .value_kind:     global_buffer
      - .actual_access:  read_only
        .address_space:  global
        .offset:         40
        .size:           8
        .value_kind:     global_buffer
      - .actual_access:  write_only
        .address_space:  global
        .offset:         48
        .size:           8
        .value_kind:     global_buffer
      - .offset:         56
        .size:           4
        .value_kind:     hidden_block_count_x
      - .offset:         60
        .size:           4
        .value_kind:     hidden_block_count_y
      - .offset:         64
        .size:           4
        .value_kind:     hidden_block_count_z
      - .offset:         68
        .size:           2
        .value_kind:     hidden_group_size_x
      - .offset:         70
        .size:           2
        .value_kind:     hidden_group_size_y
      - .offset:         72
        .size:           2
        .value_kind:     hidden_group_size_z
      - .offset:         74
        .size:           2
        .value_kind:     hidden_remainder_x
      - .offset:         76
        .size:           2
        .value_kind:     hidden_remainder_y
      - .offset:         78
        .size:           2
        .value_kind:     hidden_remainder_z
      - .offset:         96
        .size:           8
        .value_kind:     hidden_global_offset_x
      - .offset:         104
        .size:           8
        .value_kind:     hidden_global_offset_y
      - .offset:         112
        .size:           8
        .value_kind:     hidden_global_offset_z
      - .offset:         120
        .size:           2
        .value_kind:     hidden_grid_dims
    .group_segment_fixed_size: 40960
    .kernarg_segment_align: 8
    .kernarg_segment_size: 312
    .language:       OpenCL C
    .language_version:
      - 2
      - 0
    .max_flat_workgroup_size: 256
    .name:           _ZN9rocsparseL48gtsv_nopivot_strided_batch_cr_pow2_stage2_kernelILj256E21rocsparse_complex_numIdEEEviiiPKT0_S5_S5_S5_PS3_
    .private_segment_fixed_size: 0
    .sgpr_count:     18
    .sgpr_spill_count: 0
    .symbol:         _ZN9rocsparseL48gtsv_nopivot_strided_batch_cr_pow2_stage2_kernelILj256E21rocsparse_complex_numIdEEEviiiPKT0_S5_S5_S5_PS3_.kd
    .uniform_work_group_size: 1
    .uses_dynamic_stack: false
    .vgpr_count:     64
    .vgpr_spill_count: 0
    .wavefront_size: 32
    .workgroup_processor_mode: 1
  - .args:
      - .offset:         0
        .size:           4
        .value_kind:     by_value
      - .offset:         4
        .size:           4
        .value_kind:     by_value
      - .offset:         8
        .size:           4
        .value_kind:     by_value
      - .offset:         12
        .size:           4
        .value_kind:     by_value
      - .actual_access:  read_only
        .address_space:  global
        .offset:         16
        .size:           8
        .value_kind:     global_buffer
      - .actual_access:  read_only
        .address_space:  global
        .offset:         24
        .size:           8
        .value_kind:     global_buffer
      - .actual_access:  read_only
        .address_space:  global
        .offset:         32
        .size:           8
        .value_kind:     global_buffer
      - .actual_access:  read_only
        .address_space:  global
        .offset:         40
        .size:           8
        .value_kind:     global_buffer
      - .actual_access:  write_only
        .address_space:  global
        .offset:         48
        .size:           8
        .value_kind:     global_buffer
      - .actual_access:  write_only
        .address_space:  global
        .offset:         56
        .size:           8
        .value_kind:     global_buffer
      - .actual_access:  write_only
        .address_space:  global
        .offset:         64
        .size:           8
        .value_kind:     global_buffer
      - .actual_access:  write_only
        .address_space:  global
        .offset:         72
        .size:           8
        .value_kind:     global_buffer
    .group_segment_fixed_size: 0
    .kernarg_segment_align: 8
    .kernarg_segment_size: 80
    .language:       OpenCL C
    .language_version:
      - 2
      - 0
    .max_flat_workgroup_size: 256
    .name:           _ZN9rocsparseL44gtsv_nopivot_strided_batch_pcr_stage1_kernelILj256E21rocsparse_complex_numIdEEEviiiiPKT0_S5_S5_S5_PS3_S6_S6_S6_
    .private_segment_fixed_size: 0
    .sgpr_count:     30
    .sgpr_spill_count: 0
    .symbol:         _ZN9rocsparseL44gtsv_nopivot_strided_batch_pcr_stage1_kernelILj256E21rocsparse_complex_numIdEEEviiiiPKT0_S5_S5_S5_PS3_S6_S6_S6_.kd
    .uniform_work_group_size: 1
    .uses_dynamic_stack: false
    .vgpr_count:     70
    .vgpr_spill_count: 0
    .wavefront_size: 32
    .workgroup_processor_mode: 1
  - .args:
      - .offset:         0
        .size:           4
        .value_kind:     by_value
      - .offset:         4
        .size:           4
        .value_kind:     by_value
      - .offset:         8
        .size:           4
        .value_kind:     by_value
      - .actual_access:  read_only
        .address_space:  global
        .offset:         16
        .size:           8
        .value_kind:     global_buffer
      - .actual_access:  read_only
        .address_space:  global
        .offset:         24
        .size:           8
        .value_kind:     global_buffer
      - .actual_access:  read_only
        .address_space:  global
        .offset:         32
        .size:           8
        .value_kind:     global_buffer
      - .actual_access:  read_only
        .address_space:  global
        .offset:         40
        .size:           8
        .value_kind:     global_buffer
      - .actual_access:  write_only
        .address_space:  global
        .offset:         48
        .size:           8
        .value_kind:     global_buffer
      - .offset:         56
        .size:           4
        .value_kind:     hidden_block_count_x
      - .offset:         60
        .size:           4
        .value_kind:     hidden_block_count_y
      - .offset:         64
        .size:           4
        .value_kind:     hidden_block_count_z
      - .offset:         68
        .size:           2
        .value_kind:     hidden_group_size_x
      - .offset:         70
        .size:           2
        .value_kind:     hidden_group_size_y
      - .offset:         72
        .size:           2
        .value_kind:     hidden_group_size_z
      - .offset:         74
        .size:           2
        .value_kind:     hidden_remainder_x
      - .offset:         76
        .size:           2
        .value_kind:     hidden_remainder_y
      - .offset:         78
        .size:           2
        .value_kind:     hidden_remainder_z
      - .offset:         96
        .size:           8
        .value_kind:     hidden_global_offset_x
      - .offset:         104
        .size:           8
        .value_kind:     hidden_global_offset_y
      - .offset:         112
        .size:           8
        .value_kind:     hidden_global_offset_z
      - .offset:         120
        .size:           2
        .value_kind:     hidden_grid_dims
    .group_segment_fixed_size: 40960
    .kernarg_segment_align: 8
    .kernarg_segment_size: 312
    .language:       OpenCL C
    .language_version:
      - 2
      - 0
    .max_flat_workgroup_size: 512
    .name:           _ZN9rocsparseL44gtsv_nopivot_strided_batch_pcr_stage2_kernelILj512E21rocsparse_complex_numIdEEEviiiPKT0_S5_S5_S5_PS3_
    .private_segment_fixed_size: 0
    .sgpr_count:     18
    .sgpr_spill_count: 0
    .symbol:         _ZN9rocsparseL44gtsv_nopivot_strided_batch_pcr_stage2_kernelILj512E21rocsparse_complex_numIdEEEviiiPKT0_S5_S5_S5_PS3_.kd
    .uniform_work_group_size: 1
    .uses_dynamic_stack: false
    .vgpr_count:     62
    .vgpr_spill_count: 0
    .wavefront_size: 32
    .workgroup_processor_mode: 1
amdhsa.target:   amdgcn-amd-amdhsa--gfx1100
amdhsa.version:
  - 1
  - 2
...

	.end_amdgpu_metadata
